;; amdgpu-corpus repo=ROCm/rocFFT kind=compiled arch=gfx950 opt=O3
	.text
	.amdgcn_target "amdgcn-amd-amdhsa--gfx950"
	.amdhsa_code_object_version 6
	.protected	bluestein_single_back_len640_dim1_sp_op_CI_CI ; -- Begin function bluestein_single_back_len640_dim1_sp_op_CI_CI
	.globl	bluestein_single_back_len640_dim1_sp_op_CI_CI
	.p2align	8
	.type	bluestein_single_back_len640_dim1_sp_op_CI_CI,@function
bluestein_single_back_len640_dim1_sp_op_CI_CI: ; @bluestein_single_back_len640_dim1_sp_op_CI_CI
; %bb.0:
	s_load_dwordx4 s[8:11], s[0:1], 0x28
	v_lshrrev_b32_e32 v1, 6, v0
	v_mov_b32_e32 v33, 0
	v_lshl_or_b32 v86, s2, 1, v1
	v_mov_b32_e32 v87, v33
	s_waitcnt lgkmcnt(0)
	v_cmp_gt_u64_e32 vcc, s[8:9], v[86:87]
	s_and_saveexec_b64 s[2:3], vcc
	s_cbranch_execz .LBB0_23
; %bb.1:
	s_load_dwordx4 s[4:7], s[0:1], 0x18
	s_load_dwordx2 s[16:17], s[0:1], 0x0
	v_and_b32_e32 v116, 63, v0
	v_mov_b32_e32 v2, s10
	v_mov_b32_e32 v3, s11
	s_waitcnt lgkmcnt(0)
	s_load_dwordx4 s[12:15], s[4:5], 0x0
	v_lshlrev_b32_e32 v92, 3, v116
	global_load_dwordx2 v[78:79], v92, s[16:17]
	v_mov_b32_e32 v93, v33
	v_lshl_add_u64 v[68:69], s[16:17], 0, v[92:93]
	s_waitcnt lgkmcnt(0)
	v_mad_u64_u32 v[4:5], s[2:3], s14, v86, 0
	v_mov_b32_e32 v8, v5
	v_mad_u64_u32 v[6:7], s[2:3], s12, v116, 0
	v_mad_u64_u32 v[8:9], s[2:3], s15, v86, v[8:9]
	v_mov_b32_e32 v5, v8
	v_mov_b32_e32 v8, v7
	v_mad_u64_u32 v[8:9], s[2:3], s13, v116, v[8:9]
	s_mul_i32 s2, s13, 0x50
	s_mul_hi_u32 s3, s12, 0x50
	v_mov_b32_e32 v7, v8
	v_lshl_add_u64 v[2:3], v[4:5], 3, v[2:3]
	s_add_i32 s3, s3, s2
	s_mul_i32 s2, s12, 0x50
	v_lshl_add_u64 v[2:3], v[6:7], 3, v[2:3]
	s_lshl_b64 s[18:19], s[2:3], 3
	global_load_dwordx2 v[10:11], v[2:3], off
	v_lshl_add_u64 v[2:3], v[2:3], 0, s[18:19]
	global_load_dwordx2 v[12:13], v[2:3], off
	global_load_dwordx2 v[80:81], v92, s[16:17] offset:640
	v_lshl_add_u64 v[2:3], v[2:3], 0, s[18:19]
	global_load_dwordx2 v[72:73], v92, s[16:17] offset:1280
	global_load_dwordx2 v[14:15], v[2:3], off
	v_lshl_add_u64 v[2:3], v[2:3], 0, s[18:19]
	global_load_dwordx2 v[16:17], v[2:3], off
	global_load_dwordx2 v[74:75], v92, s[16:17] offset:1920
	v_lshl_add_u64 v[2:3], v[2:3], 0, s[18:19]
	global_load_dwordx2 v[18:19], v[2:3], off
	v_lshl_add_u64 v[2:3], v[2:3], 0, s[18:19]
	global_load_dwordx2 v[84:85], v92, s[16:17] offset:2560
	global_load_dwordx2 v[20:21], v[2:3], off
	v_lshl_add_u64 v[2:3], v[2:3], 0, s[18:19]
	s_movk_i32 s2, 0x1000
	global_load_dwordx2 v[22:23], v[2:3], off
	global_load_dwordx2 v[82:83], v92, s[16:17] offset:3200
	global_load_dwordx2 v[70:71], v92, s[16:17] offset:3840
	v_lshl_add_u64 v[4:5], v[2:3], 0, s[18:19]
	v_add_co_u32_e32 v2, vcc, s2, v68
	v_and_b32_e32 v0, 64, v0
	s_nop 0
	v_addc_co_u32_e32 v3, vcc, 0, v69, vcc
	global_load_dwordx2 v[76:77], v[2:3], off offset:384
	global_load_dwordx2 v[24:25], v[4:5], off
	v_mov_b32_e32 v1, 0x280
	v_cmp_ne_u32_e32 vcc, 0, v0
	s_load_dwordx2 s[14:15], s[0:1], 0x38
	s_load_dwordx4 s[8:11], s[6:7], 0x0
	v_cndmask_b32_e32 v118, 0, v1, vcc
	v_or_b32_e32 v0, v118, v116
	v_lshlrev_b32_e32 v117, 3, v0
	v_lshl_or_b32 v87, v118, 3, v92
	v_add_u32_e32 v6, 0x400, v87
	v_or_b32_e32 v32, 64, v116
	s_mov_b64 s[2:3], 0x4f
	s_mov_b64 s[4:5], 0x50
	v_add_u32_e32 v8, 0x800, v87
	v_cmp_lt_u64_e64 s[2:3], s[2:3], v[32:33]
	v_cmp_gt_u64_e64 s[4:5], s[4:5], v[32:33]
	s_waitcnt vmcnt(14)
	v_mul_f32_e32 v0, v11, v79
	v_mul_f32_e32 v1, v10, v79
	v_fmac_f32_e32 v0, v10, v78
	v_fma_f32 v1, v11, v78, -v1
	s_waitcnt vmcnt(12)
	v_mul_f32_e32 v10, v13, v81
	v_mul_f32_e32 v7, v12, v81
	ds_write_b64 v117, v[0:1]
	s_waitcnt vmcnt(10)
	v_mul_f32_e32 v0, v15, v73
	v_mul_f32_e32 v1, v14, v73
	v_fmac_f32_e32 v10, v12, v80
	v_fma_f32 v11, v13, v80, -v7
	v_fmac_f32_e32 v0, v14, v72
	v_fma_f32 v1, v15, v72, -v1
	s_waitcnt vmcnt(8)
	v_mul_f32_e32 v12, v17, v75
	v_mul_f32_e32 v7, v16, v75
	ds_write2_b64 v87, v[10:11], v[0:1] offset0:80 offset1:160
	s_waitcnt vmcnt(6)
	v_mul_f32_e32 v0, v19, v85
	v_mul_f32_e32 v1, v18, v85
	v_fmac_f32_e32 v12, v16, v74
	v_fma_f32 v13, v17, v74, -v7
	v_fmac_f32_e32 v0, v18, v84
	v_fma_f32 v1, v19, v84, -v1
	s_waitcnt vmcnt(3)
	v_mul_f32_e32 v7, v20, v83
	v_mul_f32_e32 v10, v21, v83
	ds_write2_b64 v6, v[12:13], v[0:1] offset0:112 offset1:192
	v_fma_f32 v11, v21, v82, -v7
	s_waitcnt vmcnt(2)
	v_mul_f32_e32 v0, v23, v71
	v_mul_f32_e32 v1, v22, v71
	s_waitcnt vmcnt(0)
	v_mul_f32_e32 v12, v25, v77
	v_mul_f32_e32 v7, v24, v77
	v_fmac_f32_e32 v10, v20, v82
	v_fmac_f32_e32 v0, v22, v70
	v_fma_f32 v1, v23, v70, -v1
	v_fmac_f32_e32 v12, v24, v76
	v_fma_f32 v13, v25, v76, -v7
	ds_write2_b64 v8, v[10:11], v[0:1] offset0:144 offset1:224
	ds_write_b64 v87, v[12:13] offset:4480
	s_and_saveexec_b64 s[6:7], s[4:5]
	s_cbranch_execz .LBB0_3
; %bb.2:
	v_mov_b32_e32 v0, 0xfffff080
	s_mulk_i32 s13, 0xf080
	v_mad_u64_u32 v[0:1], s[20:21], s12, v0, v[4:5]
	s_sub_i32 s12, s13, s12
	v_add_u32_e32 v1, s12, v1
	global_load_dwordx2 v[4:5], v[0:1], off
	global_load_dwordx2 v[10:11], v[68:69], off offset:512
	v_lshl_add_u64 v[0:1], v[0:1], 0, s[18:19]
	global_load_dwordx2 v[12:13], v[0:1], off
	global_load_dwordx2 v[14:15], v[68:69], off offset:1152
	v_lshl_add_u64 v[0:1], v[0:1], 0, s[18:19]
	global_load_dwordx2 v[16:17], v[0:1], off
	global_load_dwordx2 v[18:19], v[68:69], off offset:1792
	global_load_dwordx2 v[20:21], v[68:69], off offset:2432
	v_lshl_add_u64 v[0:1], v[0:1], 0, s[18:19]
	global_load_dwordx2 v[22:23], v[0:1], off
	v_lshl_add_u64 v[0:1], v[0:1], 0, s[18:19]
	global_load_dwordx2 v[24:25], v[0:1], off
	global_load_dwordx2 v[26:27], v[68:69], off offset:3072
	v_lshl_add_u64 v[0:1], v[0:1], 0, s[18:19]
	global_load_dwordx2 v[28:29], v[0:1], off
	global_load_dwordx2 v[30:31], v[68:69], off offset:3712
	;; [unrolled: 3-line block ×3, first 2 shown]
	global_load_dwordx2 v[38:39], v[2:3], off offset:896
	v_lshl_add_u64 v[0:1], v[0:1], 0, s[18:19]
	global_load_dwordx2 v[0:1], v[0:1], off
	s_waitcnt vmcnt(14)
	v_mul_f32_e32 v2, v5, v11
	v_mul_f32_e32 v3, v4, v11
	v_fmac_f32_e32 v2, v4, v10
	v_fma_f32 v3, v5, v10, -v3
	s_waitcnt vmcnt(12)
	v_mul_f32_e32 v4, v13, v15
	v_mul_f32_e32 v5, v12, v15
	v_fmac_f32_e32 v4, v12, v14
	v_fma_f32 v5, v13, v14, -v5
	s_waitcnt vmcnt(10)
	v_mul_f32_e32 v10, v17, v19
	v_mul_f32_e32 v7, v16, v19
	ds_write2_b64 v87, v[2:3], v[4:5] offset0:64 offset1:144
	s_waitcnt vmcnt(8)
	v_mul_f32_e32 v2, v23, v21
	v_mul_f32_e32 v3, v22, v21
	v_fmac_f32_e32 v10, v16, v18
	v_fma_f32 v11, v17, v18, -v7
	v_fmac_f32_e32 v2, v22, v20
	v_fma_f32 v3, v23, v20, -v3
	s_waitcnt vmcnt(6)
	v_mul_f32_e32 v4, v25, v27
	v_mul_f32_e32 v5, v24, v27
	ds_write2_b64 v6, v[10:11], v[2:3] offset0:96 offset1:176
	s_waitcnt vmcnt(4)
	v_mul_f32_e32 v2, v29, v31
	v_mul_f32_e32 v3, v28, v31
	v_fmac_f32_e32 v4, v24, v26
	v_fma_f32 v5, v25, v26, -v5
	;; [unrolled: 11-line block ×3, first 2 shown]
	v_fmac_f32_e32 v2, v0, v38
	v_fma_f32 v3, v1, v38, -v3
	v_add_u32_e32 v0, 0x1000, v87
	ds_write2_b64 v0, v[10:11], v[2:3] offset0:32 offset1:112
.LBB0_3:
	s_or_b64 exec, exec, s[6:7]
	s_waitcnt lgkmcnt(0)
	s_barrier
	ds_read2_b64 v[0:3], v87 offset0:80 offset1:160
	ds_read2_b64 v[4:7], v6 offset0:112 offset1:192
	ds_read2_b64 v[16:19], v8 offset0:144 offset1:224
	ds_read_b64 v[28:29], v117
	ds_read_b64 v[30:31], v87 offset:4480
	s_load_dwordx2 s[0:1], s[0:1], 0x8
                                        ; implicit-def: $vgpr10
                                        ; implicit-def: $vgpr22
                                        ; implicit-def: $vgpr14
                                        ; implicit-def: $vgpr26
	s_and_saveexec_b64 s[6:7], s[4:5]
	s_cbranch_execz .LBB0_5
; %bb.4:
	v_add_u32_e32 v12, 0x400, v87
	v_add_u32_e32 v20, 0x800, v87
	;; [unrolled: 1-line block ×3, first 2 shown]
	ds_read2_b64 v[8:11], v87 offset0:64 offset1:144
	ds_read2_b64 v[12:15], v12 offset0:96 offset1:176
	;; [unrolled: 1-line block ×4, first 2 shown]
.LBB0_5:
	s_or_b64 exec, exec, s[6:7]
	s_waitcnt lgkmcnt(0)
	v_pk_add_f32 v[36:37], v[2:3], v[18:19] neg_lo:[0,1] neg_hi:[0,1]
	v_pk_add_f32 v[18:19], v[12:13], v[24:25] neg_lo:[0,1] neg_hi:[0,1]
	;; [unrolled: 1-line block ×5, first 2 shown]
	v_add_f32_e32 v16, v9, v9
	v_pk_add_f32 v[22:23], v[10:11], v[22:23] neg_lo:[0,1] neg_hi:[0,1]
	v_mov_b32_e32 v17, v18
	v_pk_add_f32 v[26:27], v[14:15], v[26:27] neg_lo:[0,1] neg_hi:[0,1]
	v_pk_add_f32 v[42:43], v[16:17], v[6:7] op_sel:[0,1]
	v_pk_add_f32 v[44:45], v[16:17], v[6:7] op_sel:[0,1] neg_lo:[0,1] neg_hi:[0,1]
	v_mov_b32_e32 v16, v23
	v_pk_add_f32 v[16:17], v[26:27], v[16:17]
	v_fma_f32 v20, v12, 2.0, -v18
	v_fma_f32 v24, v13, 2.0, -v19
	v_add_f32_e32 v12, v7, v7
	v_add_f32_e32 v40, v23, v23
	v_mov_b32_e32 v13, v6
	v_mov_b32_e32 v18, v43
	;; [unrolled: 1-line block ×4, first 2 shown]
	v_pk_add_f32 v[12:13], v[12:13], v[18:19] neg_lo:[0,1] neg_hi:[0,1]
	v_pk_add_f32 v[18:19], v[40:41], v[16:17] neg_lo:[0,1] neg_hi:[0,1]
	v_mov_b32_e32 v47, v16
	v_fma_f32 v46, v22, 2.0, -v19
	s_mov_b32 s6, 0x3f3504f3
	v_pk_mul_f32 v[40:41], v[46:47], s[6:7] op_sel_hi:[1,0]
	v_mov_b32_e32 v9, v6
	v_mov_b32_e32 v7, v13
	v_pk_fma_f32 v[16:17], v[8:9], 2.0, v[6:7] op_sel_hi:[1,0,1] neg_lo:[0,0,1] neg_hi:[0,0,1]
	v_mov_b32_e32 v21, v40
	v_mov_b32_e32 v25, v41
	v_pk_add_f32 v[6:7], v[16:17], v[20:21] neg_lo:[0,1] neg_hi:[0,1]
	v_pk_fma_f32 v[8:9], v[46:47], s[6:7], v[42:43] op_sel_hi:[1,0,1]
	v_pk_add_f32 v[20:21], v[44:45], v[24:25] neg_lo:[0,1] neg_hi:[0,1]
	v_pk_mul_f32 v[48:49], v[18:19], s[6:7] op_sel_hi:[1,0]
	v_mov_b32_e32 v21, v9
	v_pk_fma_f32 v[8:9], v[10:11], 2.0, v[22:23] op_sel_hi:[1,0,1] neg_lo:[0,0,1] neg_hi:[0,0,1]
	v_pk_fma_f32 v[10:11], v[14:15], 2.0, v[26:27] op_sel_hi:[1,0,1] neg_lo:[0,0,1] neg_hi:[0,0,1]
	v_mov_b32_e32 v25, v48
	v_pk_add_f32 v[14:15], v[8:9], v[10:11] neg_lo:[0,1] neg_hi:[0,1]
	v_pk_add_f32 v[30:31], v[4:5], v[30:31] neg_lo:[0,1] neg_hi:[0,1]
	v_pk_fma_f32 v[8:9], v[8:9], 2.0, v[14:15] op_sel_hi:[1,0,1] neg_lo:[0,0,1] neg_hi:[0,0,1]
	v_mov_b32_e32 v24, v15
	v_mov_b32_e32 v15, v49
	;; [unrolled: 1-line block ×3, first 2 shown]
	v_pk_add_f32 v[40:41], v[6:7], v[24:25] neg_lo:[0,1] neg_hi:[0,1]
	v_pk_fma_f32 v[6:7], v[18:19], s[6:7], v[12:13] op_sel_hi:[1,0,1] neg_lo:[1,0,0] neg_hi:[1,0,0]
	v_pk_add_f32 v[96:97], v[14:15], v[20:21]
	v_mov_b32_e32 v10, v16
	v_mov_b32_e32 v11, v44
	;; [unrolled: 1-line block ×3, first 2 shown]
	v_pk_fma_f32 v[98:99], v[46:47], s[6:7], v[6:7] op_sel_hi:[1,0,1]
	v_mov_b32_e32 v6, v40
	v_mov_b32_e32 v7, v96
	v_pk_fma_f32 v[14:15], v[28:29], 2.0, v[34:35] op_sel_hi:[1,0,1] neg_lo:[0,0,1] neg_hi:[0,0,1]
	v_pk_fma_f32 v[2:3], v[2:3], 2.0, v[36:37] op_sel_hi:[1,0,1] neg_lo:[0,0,1] neg_hi:[0,0,1]
	;; [unrolled: 1-line block ×6, first 2 shown]
	v_pk_add_f32 v[22:23], v[14:15], v[2:3] neg_lo:[0,1] neg_hi:[0,1]
	v_pk_add_f32 v[4:5], v[0:1], v[4:5] neg_lo:[0,1] neg_hi:[0,1]
	v_pk_fma_f32 v[2:3], v[14:15], 2.0, v[22:23] op_sel_hi:[1,0,1] neg_lo:[0,0,1] neg_hi:[0,0,1]
	v_pk_fma_f32 v[0:1], v[0:1], 2.0, v[4:5] op_sel_hi:[1,0,1] neg_lo:[0,0,1] neg_hi:[0,0,1]
	v_pk_add_f32 v[44:45], v[10:11], v[8:9] neg_lo:[0,1] neg_hi:[0,1]
	v_pk_add_f32 v[0:1], v[2:3], v[0:1] neg_lo:[0,1] neg_hi:[0,1]
	v_pk_fma_f32 v[8:9], v[18:19], s[6:7], v[12:13] op_sel_hi:[1,0,1]
	v_pk_fma_f32 v[18:19], v[2:3], 2.0, v[0:1] op_sel_hi:[1,0,1] neg_lo:[0,0,1] neg_hi:[0,0,1]
	v_pk_add_f32 v[14:15], v[34:35], v[36:37] op_sel:[0,1] op_sel_hi:[1,0] neg_lo:[0,1] neg_hi:[0,1]
	v_pk_add_f32 v[2:3], v[34:35], v[36:37] op_sel:[0,1] op_sel_hi:[1,0]
	v_pk_add_f32 v[24:25], v[38:39], v[30:31] op_sel:[0,1] op_sel_hi:[1,0] neg_lo:[0,1] neg_hi:[0,1]
	v_mov_b32_e32 v15, v3
	v_pk_add_f32 v[2:3], v[38:39], v[30:31] op_sel:[0,1] op_sel_hi:[1,0]
	v_pk_fma_f32 v[20:21], v[34:35], 2.0, v[14:15] op_sel_hi:[1,0,1] neg_lo:[0,0,1] neg_hi:[0,0,1]
	v_mov_b32_e32 v25, v3
	v_pk_fma_f32 v[2:3], v[38:39], 2.0, v[24:25] op_sel_hi:[1,0,1] neg_lo:[0,0,1] neg_hi:[0,0,1]
	v_add_lshl_u32 v119, v118, v92, 3
	v_pk_mul_f32 v[26:27], v[2:3], s[6:7] op_sel_hi:[1,0]
	v_pk_fma_f32 v[28:29], v[2:3], s[6:7], v[20:21] op_sel_hi:[1,0,1] neg_lo:[1,0,0] neg_hi:[1,0,0]
	v_pk_fma_f32 v[8:9], v[46:47], s[6:7], v[8:9] op_sel_hi:[1,0,1] neg_lo:[1,0,0] neg_hi:[1,0,0]
	v_pk_add_f32 v[2:3], v[28:29], v[26:27] op_sel:[0,1] op_sel_hi:[1,0] neg_lo:[0,1] neg_hi:[0,1]
	v_pk_add_f32 v[26:27], v[28:29], v[26:27] op_sel:[0,1] op_sel_hi:[1,0]
	v_pk_mul_f32 v[28:29], v[24:25], s[6:7] op_sel_hi:[1,0]
	v_mov_b32_e32 v3, v27
	v_pk_fma_f32 v[20:21], v[20:21], 2.0, v[2:3] op_sel_hi:[1,0,1] neg_lo:[0,0,1] neg_hi:[0,0,1]
	v_pk_fma_f32 v[24:25], v[24:25], s[6:7], v[14:15] op_sel_hi:[1,0,1]
	s_barrier
	ds_write_b128 v119, v[18:21]
	v_pk_add_f32 v[18:19], v[22:23], v[4:5] op_sel:[0,1] op_sel_hi:[1,0] neg_lo:[0,1] neg_hi:[0,1]
	v_pk_add_f32 v[4:5], v[22:23], v[4:5] op_sel:[0,1] op_sel_hi:[1,0]
	v_pk_add_f32 v[20:21], v[24:25], v[28:29] op_sel:[0,1] op_sel_hi:[1,0] neg_lo:[0,1] neg_hi:[0,1]
	v_pk_add_f32 v[28:29], v[24:25], v[28:29] op_sel:[0,1] op_sel_hi:[1,0]
	v_mov_b32_e32 v99, v9
	v_mov_b32_e32 v42, v13
	;; [unrolled: 1-line block ×6, first 2 shown]
	v_pk_fma_f32 v[50:51], v[42:43], 2.0, v[8:9] op_sel_hi:[1,0,1] neg_lo:[0,0,1] neg_hi:[0,0,1]
	v_pk_fma_f32 v[22:23], v[22:23], 2.0, v[18:19] op_sel_hi:[1,0,1] neg_lo:[0,0,1] neg_hi:[0,0,1]
	;; [unrolled: 1-line block ×3, first 2 shown]
	v_lshlrev_b32_e32 v120, 3, v32
	ds_write_b128 v119, v[22:25] offset:16
	ds_write_b128 v119, v[0:3] offset:32
	;; [unrolled: 1-line block ×3, first 2 shown]
	s_and_saveexec_b64 s[6:7], s[4:5]
	s_cbranch_execz .LBB0_7
; %bb.6:
	v_mov_b32_e32 v2, v17
	v_mov_b32_e32 v3, v12
	;; [unrolled: 1-line block ×4, first 2 shown]
	v_add_lshl_u32 v13, v118, v120, 3
	v_pk_fma_f32 v[0:1], v[10:11], 2.0, v[44:45] op_sel_hi:[1,0,1] neg_lo:[0,0,1] neg_hi:[0,0,1]
	v_pk_fma_f32 v[2:3], v[2:3], 2.0, v[4:5] op_sel_hi:[1,0,1] neg_lo:[0,0,1] neg_hi:[0,0,1]
	v_mov_b32_e32 v46, v41
	v_mov_b32_e32 v47, v98
	ds_write_b128 v13, v[0:3]
	ds_write_b128 v13, v[48:51] offset:16
	ds_write_b128 v13, v[44:47] offset:32
	;; [unrolled: 1-line block ×3, first 2 shown]
.LBB0_7:
	s_or_b64 exec, exec, s[6:7]
	v_and_b32_e32 v33, 7, v116
	s_movk_i32 s6, 0x48
	v_mov_b64_e32 v[0:1], s[0:1]
	v_mad_u64_u32 v[0:1], s[6:7], v33, s6, v[0:1]
	s_waitcnt lgkmcnt(0)
	s_barrier
	global_load_dwordx4 v[24:27], v[0:1], off
	global_load_dwordx4 v[20:23], v[0:1], off offset:16
	global_load_dwordx4 v[16:19], v[0:1], off offset:32
	;; [unrolled: 1-line block ×3, first 2 shown]
	global_load_dwordx2 v[88:89], v[0:1], off offset:64
	ds_read_b64 v[34:35], v117
	ds_read2st64_b64 v[0:3], v87 offset0:1 offset1:2
	ds_read2st64_b64 v[4:7], v87 offset0:3 offset1:4
	;; [unrolled: 1-line block ×4, first 2 shown]
	ds_read_b64 v[36:37], v87 offset:4608
	s_mov_b32 s12, 0x3f737871
	s_mov_b32 s13, 0xbf737871
	;; [unrolled: 1-line block ×6, first 2 shown]
	s_waitcnt lgkmcnt(0)
	s_barrier
	s_waitcnt vmcnt(4)
	v_pk_mul_f32 v[38:39], v[0:1], v[24:25] op_sel_hi:[1,0]
	v_mov_b32_e32 v42, v25
	v_mov_b32_e32 v46, v27
	s_waitcnt vmcnt(3)
	v_pk_mul_f32 v[52:53], v[4:5], v[20:21] op_sel_hi:[1,0]
	v_mov_b32_e32 v54, v21
	v_mov_b32_e32 v56, v23
	;; [unrolled: 4-line block ×4, first 2 shown]
	s_waitcnt vmcnt(0)
	v_pk_mul_f32 v[94:95], v[36:37], v[88:89] op_sel_hi:[1,0]
	v_mov_b32_e32 v100, v89
	v_pk_fma_f32 v[42:43], v[0:1], v[42:43], v[38:39] op_sel:[0,0,1] op_sel_hi:[1,1,0]
	v_pk_fma_f32 v[0:1], v[0:1], v[24:25], v[38:39] op_sel:[0,1,1] op_sel_hi:[1,1,0] neg_lo:[1,0,0] neg_hi:[1,0,0]
	v_pk_mul_f32 v[38:39], v[2:3], v[46:47] op_sel_hi:[1,0]
	v_pk_fma_f32 v[46:47], v[4:5], v[54:55], v[52:53] op_sel:[0,0,1] op_sel_hi:[1,1,0]
	v_pk_fma_f32 v[4:5], v[4:5], v[20:21], v[52:53] op_sel:[0,1,1] op_sel_hi:[1,1,0] neg_lo:[1,0,0] neg_hi:[1,0,0]
	v_pk_mul_f32 v[52:53], v[6:7], v[56:57] op_sel_hi:[1,0]
	;; [unrolled: 3-line block ×4, first 2 shown]
	v_pk_fma_f32 v[62:63], v[36:37], v[100:101], v[94:95] op_sel:[0,0,1] op_sel_hi:[1,1,0]
	v_pk_fma_f32 v[36:37], v[36:37], v[88:89], v[94:95] op_sel:[0,1,1] op_sel_hi:[1,1,0] neg_lo:[1,0,0] neg_hi:[1,0,0]
	v_mov_b32_e32 v43, v1
	v_pk_fma_f32 v[0:1], v[2:3], v[26:27], v[38:39] op_sel:[0,0,1] op_sel_hi:[1,1,0] neg_lo:[0,0,1] neg_hi:[0,0,1]
	v_pk_fma_f32 v[2:3], v[2:3], v[26:27], v[38:39] op_sel:[0,0,1] op_sel_hi:[1,0,0]
	v_mov_b32_e32 v47, v5
	v_pk_fma_f32 v[4:5], v[6:7], v[22:23], v[52:53] op_sel:[0,0,1] op_sel_hi:[1,1,0] neg_lo:[0,0,1] neg_hi:[0,0,1]
	v_pk_fma_f32 v[6:7], v[6:7], v[22:23], v[52:53] op_sel:[0,0,1] op_sel_hi:[1,0,0]
	;; [unrolled: 3-line block ×4, first 2 shown]
	v_mov_b32_e32 v63, v37
	v_mov_b32_e32 v1, v3
	;; [unrolled: 1-line block ×5, first 2 shown]
	v_pk_add_f32 v[36:37], v[54:55], v[58:59]
	v_pk_add_f32 v[38:39], v[46:47], v[62:63] neg_lo:[0,1] neg_hi:[0,1]
	v_pk_add_f32 v[56:57], v[46:47], v[54:55] neg_lo:[0,1] neg_hi:[0,1]
	v_pk_add_f32 v[60:61], v[62:63], v[58:59] neg_lo:[0,1] neg_hi:[0,1]
	v_pk_add_f32 v[94:95], v[0:1], v[4:5] neg_lo:[0,1] neg_hi:[0,1]
	v_pk_add_f32 v[100:101], v[28:29], v[12:13] neg_lo:[0,1] neg_hi:[0,1]
	v_pk_fma_f32 v[36:37], v[36:37], 0.5, v[42:43] op_sel_hi:[1,0,1] neg_lo:[1,0,0] neg_hi:[1,0,0]
	v_pk_add_f32 v[52:53], v[54:55], v[58:59] neg_lo:[0,1] neg_hi:[0,1]
	v_pk_add_f32 v[56:57], v[56:57], v[60:61]
	v_pk_add_f32 v[60:61], v[94:95], v[100:101]
	v_pk_fma_f32 v[94:95], v[38:39], s[12:13], v[36:37] op_sel:[1,0,0] op_sel_hi:[0,0,1]
	v_pk_fma_f32 v[36:37], v[38:39], s[12:13], v[36:37] op_sel:[1,0,0] op_sel_hi:[0,0,1] neg_lo:[1,0,0] neg_hi:[1,0,0]
	v_pk_fma_f32 v[36:37], v[52:53], s[18:19], v[36:37] op_sel:[1,0,0] op_sel_hi:[0,0,1] neg_lo:[1,0,0] neg_hi:[1,0,0]
	v_pk_fma_f32 v[94:95], v[52:53], s[18:19], v[94:95] op_sel:[1,0,0] op_sel_hi:[0,0,1]
	v_mov_b32_e32 v100, v94
	v_mov_b32_e32 v101, v37
	v_pk_add_f32 v[102:103], v[0:1], v[28:29]
	v_pk_fma_f32 v[100:101], v[56:57], s[6:7], v[100:101] op_sel_hi:[1,0,1]
	v_mov_b32_e32 v2, v3
	v_mov_b32_e32 v3, v0
	v_pk_add_f32 v[0:1], v[34:35], v[0:1]
	v_pk_add_f32 v[90:91], v[4:5], v[12:13]
	v_pk_mul_f32 v[104:105], v[100:101], s[20:21] op_sel_hi:[1,0]
	v_mov_b32_e32 v30, v31
	v_mov_b32_e32 v31, v28
	v_mov_b32_e32 v6, v7
	v_mov_b32_e32 v7, v4
	v_mov_b32_e32 v14, v15
	v_mov_b32_e32 v15, v12
	v_pk_add_f32 v[0:1], v[0:1], v[4:5]
	v_pk_add_f32 v[64:65], v[54:55], v[46:47] neg_lo:[0,1] neg_hi:[0,1]
	v_pk_add_f32 v[66:67], v[58:59], v[62:63] neg_lo:[0,1] neg_hi:[0,1]
	v_pk_fma_f32 v[100:101], v[100:101], s[18:19], v[104:105] op_sel:[0,0,1] op_sel_hi:[1,1,0] neg_lo:[0,0,1] neg_hi:[0,0,1]
	v_pk_add_f32 v[104:105], v[2:3], v[30:31] neg_lo:[0,1] neg_hi:[0,1]
	v_pk_fma_f32 v[90:91], v[90:91], 0.5, v[34:35] op_sel_hi:[1,0,1] neg_lo:[1,0,0] neg_hi:[1,0,0]
	v_pk_add_f32 v[2:3], v[6:7], v[2:3] neg_lo:[0,1] neg_hi:[0,1]
	v_pk_add_f32 v[6:7], v[6:7], v[14:15] neg_lo:[0,1] neg_hi:[0,1]
	;; [unrolled: 1-line block ×3, first 2 shown]
	v_pk_add_f32 v[0:1], v[0:1], v[12:13]
	v_mov_b32_e32 v37, v95
	v_pk_add_f32 v[2:3], v[2:3], v[14:15]
	v_pk_fma_f32 v[14:15], v[104:105], s[12:13], v[90:91] op_sel_hi:[1,0,1] neg_lo:[1,0,0] neg_hi:[1,0,0]
	v_pk_fma_f32 v[30:31], v[104:105], s[12:13], v[90:91] op_sel_hi:[1,0,1]
	v_pk_add_f32 v[64:65], v[64:65], v[66:67]
	v_pk_add_f32 v[66:67], v[42:43], v[46:47]
	v_lshrrev_b32_e32 v4, 3, v116
	v_pk_add_f32 v[0:1], v[0:1], v[28:29]
	v_pk_fma_f32 v[28:29], v[56:57], s[6:7], v[36:37] op_sel_hi:[1,0,1]
	v_pk_fma_f32 v[102:103], v[102:103], 0.5, v[34:35] op_sel_hi:[1,0,1] neg_lo:[1,0,0] neg_hi:[1,0,0]
	v_pk_fma_f32 v[30:31], v[6:7], s[18:19], v[30:31] op_sel_hi:[1,0,1]
	v_pk_fma_f32 v[14:15], v[6:7], s[18:19], v[14:15] op_sel_hi:[1,0,1] neg_lo:[1,0,0] neg_hi:[1,0,0]
	v_pk_add_f32 v[54:55], v[66:67], v[54:55]
	v_mul_u32_u24_e32 v4, 0x50, v4
	v_pk_mul_f32 v[34:35], v[28:29], s[18:19] op_sel_hi:[1,0]
	v_pk_fma_f32 v[90:91], v[6:7], s[12:13], v[102:103] op_sel_hi:[1,0,1] neg_lo:[1,0,0] neg_hi:[1,0,0]
	v_pk_fma_f32 v[6:7], v[6:7], s[12:13], v[102:103] op_sel_hi:[1,0,1]
	v_mov_b32_e32 v103, v31
	v_pk_add_f32 v[58:59], v[54:55], v[58:59]
	v_or_b32_e32 v4, v4, v33
	v_pk_fma_f32 v[36:37], v[28:29], s[20:21], v[34:35] op_sel:[0,0,1] op_sel_hi:[1,0,0]
	v_pk_fma_f32 v[28:29], v[28:29], s[20:21], v[34:35] op_sel:[0,0,1] op_sel_hi:[1,0,0] neg_lo:[0,0,1] neg_hi:[0,0,1]
	v_mov_b32_e32 v31, v15
	v_mov_b32_e32 v102, v14
	v_add_lshl_u32 v121, v118, v4, 3
	v_pk_add_f32 v[4:5], v[58:59], v[62:63]
	v_mov_b32_e32 v34, v37
	v_mov_b32_e32 v35, v28
	v_pk_fma_f32 v[14:15], v[60:61], s[6:7], v[30:31] op_sel_hi:[1,0,1]
	v_pk_add_f32 v[12:13], v[0:1], v[4:5] op_sel:[0,1] op_sel_hi:[1,0]
	v_pk_add_f32 v[28:29], v[14:15], v[34:35]
	ds_write2_b64 v121, v[12:13], v[28:29] offset1:8
	v_pk_add_f32 v[12:13], v[46:47], v[62:63]
	v_pk_fma_f32 v[90:91], v[104:105], s[18:19], v[90:91] op_sel_hi:[1,0,1]
	v_pk_fma_f32 v[12:13], v[12:13], 0.5, v[42:43] op_sel_hi:[1,0,1] neg_lo:[1,0,0] neg_hi:[1,0,0]
	v_pk_fma_f32 v[6:7], v[104:105], s[18:19], v[6:7] op_sel_hi:[1,0,1] neg_lo:[1,0,0] neg_hi:[1,0,0]
	v_pk_fma_f32 v[28:29], v[52:53], s[12:13], v[12:13] op_sel:[1,0,0] op_sel_hi:[0,0,1]
	v_pk_fma_f32 v[12:13], v[52:53], s[12:13], v[12:13] op_sel:[1,0,0] op_sel_hi:[0,0,1] neg_lo:[1,0,0] neg_hi:[1,0,0]
	v_pk_mul_f32 v[66:67], v[38:39], s[18:19] op_sel:[1,0] op_sel_hi:[0,0]
	v_mov_b32_e32 v30, v13
	v_mov_b32_e32 v31, v28
	v_pk_fma_f32 v[28:29], v[38:39], s[18:19], v[28:29] op_sel:[1,0,0] op_sel_hi:[0,0,1] neg_lo:[1,0,0] neg_hi:[1,0,0]
	v_pk_fma_f32 v[12:13], v[38:39], s[18:19], v[12:13] op_sel:[1,0,0] op_sel_hi:[0,0,1]
	v_mov_b32_e32 v104, v6
	v_mov_b32_e32 v105, v91
	;; [unrolled: 1-line block ×3, first 2 shown]
	v_pk_add_f32 v[6:7], v[30:31], v[66:67] op_sel:[0,1] op_sel_hi:[1,0]
	v_pk_add_f32 v[30:31], v[30:31], v[66:67] op_sel:[0,1] op_sel_hi:[1,0] neg_lo:[0,1] neg_hi:[0,1]
	v_mov_b32_e32 v13, v29
	v_pk_mul_f32 v[106:107], v[64:65], s[6:7] op_sel_hi:[1,0]
	v_mov_b32_e32 v7, v31
	v_pk_fma_f32 v[12:13], v[64:65], s[6:7], v[12:13] op_sel_hi:[1,0,1]
	v_pk_add_f32 v[6:7], v[106:107], v[6:7] op_sel:[1,0] op_sel_hi:[0,1]
	v_pk_mul_f32 v[28:29], v[12:13], s[6:7] op_sel_hi:[1,0]
	v_pk_mul_f32 v[2:3], v[2:3], s[6:7] op_sel_hi:[1,0]
	v_pk_fma_f32 v[12:13], v[12:13], s[12:13], v[28:29] op_sel:[0,0,1] op_sel_hi:[1,1,0] neg_lo:[0,0,1] neg_hi:[0,0,1]
	v_pk_mul_f32 v[28:29], v[6:7], s[12:13] op_sel_hi:[1,0]
	v_pk_add_f32 v[104:105], v[2:3], v[104:105] op_sel:[1,0] op_sel_hi:[0,1]
	v_pk_fma_f32 v[30:31], v[6:7], s[6:7], v[28:29] op_sel:[0,0,1] op_sel_hi:[1,0,0]
	v_pk_fma_f32 v[6:7], v[6:7], s[6:7], v[28:29] op_sel:[0,0,1] op_sel_hi:[1,0,0] neg_lo:[0,0,1] neg_hi:[0,0,1]
	v_pk_add_f32 v[2:3], v[2:3], v[90:91] op_sel:[1,0] op_sel_hi:[0,1]
	v_mov_b32_e32 v31, v7
	v_pk_fma_f32 v[102:103], v[60:61], s[6:7], v[102:103] op_sel_hi:[1,0,1]
	v_pk_add_f32 v[6:7], v[2:3], v[30:31]
	v_pk_add_f32 v[52:53], v[104:105], v[12:13] neg_lo:[0,1] neg_hi:[0,1]
	v_pk_add_f32 v[12:13], v[104:105], v[12:13]
	ds_write2_b64 v121, v[6:7], v[12:13] offset0:16 offset1:24
	v_pk_add_f32 v[6:7], v[102:103], v[100:101]
	v_pk_add_f32 v[0:1], v[0:1], v[4:5] op_sel:[0,1] op_sel_hi:[1,0] neg_lo:[0,1] neg_hi:[0,1]
	ds_write2_b64 v121, v[6:7], v[0:1] offset0:32 offset1:40
	v_pk_add_f32 v[0:1], v[14:15], v[34:35] neg_lo:[0,1] neg_hi:[0,1]
	v_pk_add_f32 v[2:3], v[2:3], v[30:31] neg_lo:[0,1] neg_hi:[0,1]
	v_pk_add_f32 v[54:55], v[102:103], v[100:101] neg_lo:[0,1] neg_hi:[0,1]
	ds_write2_b64 v121, v[0:1], v[2:3] offset0:48 offset1:56
	ds_write2_b64 v121, v[52:53], v[54:55] offset0:64 offset1:72
	v_add_u32_e32 v0, 0x400, v87
	s_waitcnt lgkmcnt(0)
	s_barrier
	ds_read2_b64 v[60:63], v0 offset0:112 offset1:192
	v_add_u32_e32 v0, 0x800, v87
	ds_read2_b64 v[64:67], v87 offset0:80 offset1:160
	ds_read2_b64 v[56:59], v0 offset0:144 offset1:224
	ds_read_b64 v[100:101], v117
	ds_read_b64 v[102:103], v87 offset:4480
	s_and_saveexec_b64 s[6:7], s[2:3]
	s_xor_b64 s[6:7], exec, s[6:7]
	s_andn2_saveexec_b64 s[6:7], s[6:7]
	s_cbranch_execz .LBB0_9
; %bb.8:
	v_add_u32_e32 v0, 0x1000, v87
	ds_read2_b64 v[40:43], v0 offset0:32 offset1:112
	v_add_u32_e32 v0, 0x800, v87
	ds_read2_b64 v[44:47], v0 offset0:128 offset1:208
	;; [unrolled: 2-line block ×3, first 2 shown]
	ds_read2_b64 v[48:51], v0 offset0:96 offset1:176
	s_waitcnt lgkmcnt(3)
	v_mov_b32_e32 v96, v41
	v_mov_b32_e32 v97, v43
	s_waitcnt lgkmcnt(2)
	v_mov_b32_e32 v98, v47
	v_mov_b32_e32 v99, v42
	;; [unrolled: 1-line block ×3, first 2 shown]
.LBB0_9:
	s_or_b64 exec, exec, s[6:7]
	v_mad_u64_u32 v[42:43], s[6:7], v116, 56, s[0:1]
	global_load_dwordx4 v[28:31], v[42:43], off offset:576
	v_add_u32_e32 v0, -16, v116
	v_cndmask_b32_e64 v0, v0, v32, s[4:5]
	v_mul_hi_i32_i24_e32 v1, 56, v0
	v_mul_i32_i24_e32 v0, 56, v0
	v_lshl_add_u64 v[36:37], s[0:1], 0, v[0:1]
	global_load_dwordx4 v[12:15], v[36:37], off offset:592
	global_load_dwordx4 v[0:3], v[36:37], off offset:608
	;; [unrolled: 1-line block ×3, first 2 shown]
	global_load_dwordx2 v[90:91], v[36:37], off offset:624
	global_load_dwordx4 v[32:35], v[42:43], off offset:592
	global_load_dwordx2 v[94:95], v[42:43], off offset:624
	s_nop 0
	global_load_dwordx4 v[36:39], v[42:43], off offset:608
	v_mov_b32_e32 v46, v45
	s_mov_b32 s0, 0x3f3504f3
	s_waitcnt vmcnt(7) lgkmcnt(3)
	v_pk_mul_f32 v[42:43], v[64:65], v[28:29] op_sel:[0,1]
	s_nop 0
	v_pk_fma_f32 v[104:105], v[64:65], v[28:29], v[42:43] op_sel:[0,0,1] op_sel_hi:[1,1,0] neg_lo:[0,0,1] neg_hi:[0,0,1]
	v_pk_fma_f32 v[64:65], v[64:65], v[28:29], v[42:43] op_sel:[0,0,1] op_sel_hi:[1,0,0]
	s_waitcnt vmcnt(6)
	v_pk_mul_f32 v[42:43], v[44:45], v[14:15]
	s_waitcnt vmcnt(5)
	v_mov_b32_e32 v64, v3
	v_mov_b32_e32 v42, v15
	s_waitcnt vmcnt(4) lgkmcnt(1)
	v_pk_mul_f32 v[106:107], v[54:55], v[4:5] op_sel_hi:[0,1]
	s_waitcnt lgkmcnt(0)
	v_pk_mul_f32 v[108:109], v[48:49], v[6:7] op_sel:[1,0]
	v_pk_mul_f32 v[110:111], v[50:51], v[12:13] op_sel_hi:[0,1]
	v_pk_mul_f32 v[112:113], v[40:41], v[0:1] op_sel:[1,0]
	s_waitcnt vmcnt(3)
	v_pk_mul_f32 v[114:115], v[98:99], v[90:91] op_sel:[1,0]
	v_mov_b32_e32 v122, v43
	v_pk_mul_f32 v[42:43], v[44:45], v[42:43]
	v_pk_mul_f32 v[124:125], v[96:97], v[64:65]
	;; [unrolled: 1-line block ×3, first 2 shown]
	v_pk_fma_f32 v[128:129], v[54:55], v[4:5], v[106:107] op_sel:[0,0,1] op_sel_hi:[1,1,0] neg_lo:[1,0,0] neg_hi:[1,0,0]
	v_pk_fma_f32 v[54:55], v[54:55], v[4:5], v[106:107] op_sel:[1,0,1] op_sel_hi:[1,1,0]
	v_pk_fma_f32 v[106:107], v[48:49], v[6:7], v[108:109] op_sel:[0,0,1] op_sel_hi:[0,1,0]
	v_pk_fma_f32 v[48:49], v[48:49], v[6:7], v[108:109] op_sel:[0,0,1] op_sel_hi:[0,1,0] neg_lo:[0,0,1] neg_hi:[0,0,1]
	v_pk_fma_f32 v[108:109], v[50:51], v[12:13], v[110:111] op_sel:[0,0,1] op_sel_hi:[1,1,0] neg_lo:[1,0,0] neg_hi:[1,0,0]
	v_pk_fma_f32 v[50:51], v[50:51], v[12:13], v[110:111] op_sel:[1,0,1] op_sel_hi:[1,1,0]
	v_pk_fma_f32 v[110:111], v[98:99], v[0:1], v[112:113] op_sel:[0,0,1] op_sel_hi:[0,1,0] neg_lo:[1,0,0] neg_hi:[1,0,0]
	v_pk_fma_f32 v[98:99], v[98:99], v[0:1], v[112:113] op_sel:[0,0,1] op_sel_hi:[0,1,0]
	;; [unrolled: 2-line block ×3, first 2 shown]
	v_pk_fma_f32 v[44:45], v[44:45], v[14:15], v[122:123] neg_lo:[0,0,1] neg_hi:[0,0,1]
	v_pk_fma_f32 v[42:43], v[46:47], v[14:15], v[42:43]
	v_pk_fma_f32 v[40:41], v[40:41], v[2:3], v[124:125] neg_lo:[0,0,1] neg_hi:[0,0,1]
	v_pk_fma_f32 v[46:47], v[96:97], v[2:3], v[126:127]
	v_mov_b32_e32 v55, v129
	v_mov_b32_e32 v99, v111
	v_mov_b32_e32 v51, v109
	v_mov_b32_e32 v115, v113
	v_mov_b32_e32 v96, v107
	v_mov_b32_e32 v97, v48
	v_mov_b32_e32 v45, v42
	v_mov_b32_e32 v47, v40
	v_pk_add_f32 v[40:41], v[54:55], v[98:99] neg_lo:[0,1] neg_hi:[0,1]
	v_mov_b32_e32 v49, v107
	v_pk_add_f32 v[42:43], v[50:51], v[114:115] neg_lo:[0,1] neg_hi:[0,1]
	v_pk_add_f32 v[44:45], v[52:53], v[44:45] neg_lo:[0,1] neg_hi:[0,1]
	v_mov_b32_e32 v64, v41
	v_mov_b32_e32 v93, v40
	v_pk_add_f32 v[46:47], v[96:97], v[46:47] neg_lo:[0,1] neg_hi:[0,1]
	v_pk_fma_f32 v[54:55], v[54:55], 2.0, v[40:41] op_sel_hi:[1,0,1] neg_lo:[0,0,1] neg_hi:[0,0,1]
	v_pk_fma_f32 v[50:51], v[50:51], 2.0, v[42:43] op_sel_hi:[1,0,1] neg_lo:[0,0,1] neg_hi:[0,0,1]
	v_pk_add_f32 v[96:97], v[64:65], v[42:43] neg_lo:[0,1] neg_hi:[0,1]
	v_pk_add_f32 v[42:43], v[92:93], v[42:43]
	v_pk_fma_f32 v[52:53], v[52:53], 2.0, v[44:45] op_sel_hi:[1,0,1] neg_lo:[0,0,1] neg_hi:[0,0,1]
	v_pk_fma_f32 v[48:49], v[48:49], 2.0, v[46:47] op_sel:[0,0,1] op_sel_hi:[1,0,0] neg_lo:[0,0,1] neg_hi:[0,0,1]
	v_pk_add_f32 v[98:99], v[44:45], v[46:47] neg_lo:[0,1] neg_hi:[0,1]
	v_pk_add_f32 v[46:47], v[44:45], v[46:47]
	v_pk_add_f32 v[40:41], v[40:41], v[40:41]
	v_pk_add_f32 v[50:51], v[54:55], v[50:51] neg_lo:[0,1] neg_hi:[0,1]
	v_pk_add_f32 v[106:107], v[52:53], v[48:49] neg_lo:[0,1] neg_hi:[0,1]
	v_mov_b32_e32 v99, v47
	v_mov_b32_e32 v97, v43
	;; [unrolled: 1-line block ×3, first 2 shown]
	v_pk_fma_f32 v[42:43], v[54:55], 2.0, v[50:51] op_sel_hi:[1,0,1] neg_lo:[0,0,1] neg_hi:[0,0,1]
	v_pk_fma_f32 v[108:109], v[44:45], 2.0, v[98:99] op_sel_hi:[1,0,1] neg_lo:[0,0,1] neg_hi:[0,0,1]
	v_pk_add_f32 v[40:41], v[40:41], v[96:97] op_sel:[1,0] op_sel_hi:[0,1] neg_lo:[0,1] neg_hi:[0,1]
	v_pk_fma_f32 v[44:45], v[52:53], 2.0, v[106:107] op_sel_hi:[1,0,1] neg_lo:[0,0,1] neg_hi:[0,0,1]
	v_pk_add_f32 v[46:47], v[106:107], v[50:51]
	v_pk_add_f32 v[52:53], v[106:107], v[50:51] neg_lo:[0,1] neg_hi:[0,1]
	v_pk_mul_f32 v[50:51], v[96:97], s[0:1] op_sel_hi:[1,0]
	v_pk_fma_f32 v[96:97], v[96:97], s[0:1], v[98:99] op_sel_hi:[1,0,1]
	v_mov_b32_e32 v105, v65
	v_pk_mul_f32 v[64:65], v[66:67], v[64:65] op_sel_hi:[1,0]
	v_mov_b32_e32 v53, v47
	v_pk_add_f32 v[54:55], v[96:97], v[50:51] op_sel:[0,1] op_sel_hi:[1,0] neg_lo:[0,1] neg_hi:[0,1]
	v_pk_add_f32 v[46:47], v[96:97], v[50:51] op_sel:[0,1] op_sel_hi:[1,0]
	v_pk_fma_f32 v[96:97], v[66:67], v[30:31], v[64:65] op_sel:[0,0,1] op_sel_hi:[1,1,0] neg_lo:[0,0,1] neg_hi:[0,0,1]
	v_pk_fma_f32 v[64:65], v[66:67], v[30:31], v[64:65] op_sel:[0,0,1] op_sel_hi:[1,0,0]
	v_mov_b32_e32 v55, v47
	v_mov_b32_e32 v97, v65
	s_waitcnt vmcnt(2)
	v_pk_mul_f32 v[64:65], v[60:61], v[32:33] op_sel:[0,1]
	v_pk_fma_f32 v[46:47], v[98:99], 2.0, v[54:55] op_sel_hi:[1,0,1] neg_lo:[0,0,1] neg_hi:[0,0,1]
	v_pk_fma_f32 v[66:67], v[60:61], v[32:33], v[64:65] op_sel:[0,0,1] op_sel_hi:[1,1,0] neg_lo:[0,0,1] neg_hi:[0,0,1]
	v_pk_fma_f32 v[60:61], v[60:61], v[32:33], v[64:65] op_sel:[0,0,1] op_sel_hi:[1,0,0]
	v_pk_add_f32 v[48:49], v[44:45], v[42:43] op_sel:[0,1] op_sel_hi:[1,0] neg_lo:[0,1] neg_hi:[0,1]
	v_mov_b32_e32 v60, v35
	v_mov_b32_e32 v67, v61
	v_pk_mul_f32 v[60:61], v[62:63], v[60:61] op_sel_hi:[1,0]
	v_pk_mul_f32 v[42:43], v[40:41], s[0:1] op_sel_hi:[1,0]
	v_pk_fma_f32 v[64:65], v[62:63], v[34:35], v[60:61] op_sel:[0,0,1] op_sel_hi:[1,1,0] neg_lo:[0,0,1] neg_hi:[0,0,1]
	v_pk_fma_f32 v[60:61], v[62:63], v[34:35], v[60:61] op_sel:[0,0,1] op_sel_hi:[1,0,0]
	v_pk_fma_f32 v[110:111], v[40:41], s[0:1], v[108:109] op_sel_hi:[1,0,1] neg_lo:[1,0,0] neg_hi:[1,0,0]
	v_mov_b32_e32 v65, v61
	s_waitcnt vmcnt(0)
	v_pk_mul_f32 v[60:61], v[56:57], v[36:37] op_sel:[0,1]
	v_pk_add_f32 v[50:51], v[110:111], v[42:43] op_sel:[0,1] op_sel_hi:[1,0] neg_lo:[0,1] neg_hi:[0,1]
	v_pk_fma_f32 v[62:63], v[56:57], v[36:37], v[60:61] op_sel:[0,0,1] op_sel_hi:[1,1,0] neg_lo:[0,0,1] neg_hi:[0,0,1]
	v_pk_fma_f32 v[56:57], v[56:57], v[36:37], v[60:61] op_sel:[0,0,1] op_sel_hi:[1,0,0]
	v_pk_add_f32 v[42:43], v[110:111], v[42:43] op_sel:[0,1] op_sel_hi:[1,0]
	v_mov_b32_e32 v56, v39
	v_mov_b32_e32 v63, v57
	v_pk_mul_f32 v[56:57], v[58:59], v[56:57] op_sel_hi:[1,0]
	v_pk_add_f32 v[62:63], v[104:105], v[62:63] neg_lo:[0,1] neg_hi:[0,1]
	v_pk_fma_f32 v[60:61], v[58:59], v[38:39], v[56:57] op_sel:[0,0,1] op_sel_hi:[1,1,0] neg_lo:[0,0,1] neg_hi:[0,0,1]
	v_pk_fma_f32 v[56:57], v[58:59], v[38:39], v[56:57] op_sel:[0,0,1] op_sel_hi:[1,0,0]
	v_pk_fma_f32 v[98:99], v[104:105], 2.0, v[62:63] op_sel_hi:[1,0,1] neg_lo:[0,0,1] neg_hi:[0,0,1]
	v_mov_b32_e32 v61, v57
	v_pk_mul_f32 v[56:57], v[102:103], v[94:95] op_sel:[0,1]
	v_pk_add_f32 v[60:61], v[96:97], v[60:61] neg_lo:[0,1] neg_hi:[0,1]
	v_pk_fma_f32 v[58:59], v[102:103], v[94:95], v[56:57] op_sel:[0,0,1] op_sel_hi:[1,1,0] neg_lo:[0,0,1] neg_hi:[0,0,1]
	v_pk_fma_f32 v[56:57], v[102:103], v[94:95], v[56:57] op_sel:[0,0,1] op_sel_hi:[1,0,0]
	v_pk_fma_f32 v[96:97], v[96:97], 2.0, v[60:61] op_sel_hi:[1,0,1] neg_lo:[0,0,1] neg_hi:[0,0,1]
	v_mov_b32_e32 v59, v57
	v_pk_add_f32 v[56:57], v[100:101], v[64:65] neg_lo:[0,1] neg_hi:[0,1]
	v_pk_add_f32 v[58:59], v[66:67], v[58:59] neg_lo:[0,1] neg_hi:[0,1]
	v_pk_fma_f32 v[64:65], v[100:101], 2.0, v[56:57] op_sel_hi:[1,0,1] neg_lo:[0,0,1] neg_hi:[0,0,1]
	v_pk_fma_f32 v[66:67], v[66:67], 2.0, v[58:59] op_sel_hi:[1,0,1] neg_lo:[0,0,1] neg_hi:[0,0,1]
	v_pk_add_f32 v[96:97], v[64:65], v[96:97] neg_lo:[0,1] neg_hi:[0,1]
	v_pk_add_f32 v[66:67], v[98:99], v[66:67] neg_lo:[0,1] neg_hi:[0,1]
	v_pk_fma_f32 v[64:65], v[64:65], 2.0, v[96:97] op_sel_hi:[1,0,1] neg_lo:[0,0,1] neg_hi:[0,0,1]
	v_pk_fma_f32 v[98:99], v[98:99], 2.0, v[66:67] op_sel_hi:[1,0,1] neg_lo:[0,0,1] neg_hi:[0,0,1]
	v_mov_b32_e32 v51, v43
	v_pk_add_f32 v[98:99], v[64:65], v[98:99] neg_lo:[0,1] neg_hi:[0,1]
	v_pk_fma_f32 v[40:41], v[44:45], 2.0, v[48:49] op_sel_hi:[1,0,1] neg_lo:[0,0,1] neg_hi:[0,0,1]
	v_pk_fma_f32 v[64:65], v[64:65], 2.0, v[98:99] op_sel_hi:[1,0,1] neg_lo:[0,0,1] neg_hi:[0,0,1]
	ds_write_b64 v117, v[64:65]
	v_pk_add_f32 v[64:65], v[56:57], v[60:61] op_sel:[0,1] op_sel_hi:[1,0] neg_lo:[0,1] neg_hi:[0,1]
	v_pk_add_f32 v[60:61], v[56:57], v[60:61] op_sel:[0,1] op_sel_hi:[1,0]
	v_pk_fma_f32 v[44:45], v[106:107], 2.0, v[52:53] op_sel_hi:[1,0,1] neg_lo:[0,0,1] neg_hi:[0,0,1]
	v_mov_b32_e32 v65, v61
	v_pk_add_f32 v[60:61], v[62:63], v[58:59] op_sel:[0,1] op_sel_hi:[1,0] neg_lo:[0,1] neg_hi:[0,1]
	v_pk_add_f32 v[58:59], v[62:63], v[58:59] op_sel:[0,1] op_sel_hi:[1,0]
	v_pk_fma_f32 v[56:57], v[56:57], 2.0, v[64:65] op_sel_hi:[1,0,1] neg_lo:[0,0,1] neg_hi:[0,0,1]
	v_mov_b32_e32 v61, v59
	v_pk_fma_f32 v[58:59], v[62:63], 2.0, v[60:61] op_sel_hi:[1,0,1] neg_lo:[0,0,1] neg_hi:[0,0,1]
	v_pk_fma_f32 v[42:43], v[108:109], 2.0, v[50:51] op_sel_hi:[1,0,1] neg_lo:[0,0,1] neg_hi:[0,0,1]
	v_pk_mul_f32 v[62:63], v[58:59], s[0:1] op_sel_hi:[1,0]
	v_pk_fma_f32 v[58:59], v[58:59], s[0:1], v[56:57] op_sel_hi:[1,0,1] neg_lo:[1,0,0] neg_hi:[1,0,0]
	s_nop 0
	v_pk_add_f32 v[100:101], v[58:59], v[62:63] op_sel:[0,1] op_sel_hi:[1,0] neg_lo:[0,1] neg_hi:[0,1]
	v_pk_add_f32 v[58:59], v[58:59], v[62:63] op_sel:[0,1] op_sel_hi:[1,0]
	v_pk_add_f32 v[62:63], v[96:97], v[66:67] op_sel:[0,1] op_sel_hi:[1,0] neg_lo:[0,1] neg_hi:[0,1]
	v_mov_b32_e32 v101, v59
	v_pk_add_f32 v[58:59], v[96:97], v[66:67] op_sel:[0,1] op_sel_hi:[1,0]
	v_pk_fma_f32 v[56:57], v[56:57], 2.0, v[100:101] op_sel_hi:[1,0,1] neg_lo:[0,0,1] neg_hi:[0,0,1]
	v_mov_b32_e32 v63, v59
	v_pk_fma_f32 v[58:59], v[96:97], 2.0, v[62:63] op_sel_hi:[1,0,1] neg_lo:[0,0,1] neg_hi:[0,0,1]
	ds_write2_b64 v87, v[56:57], v[58:59] offset0:80 offset1:160
	v_pk_mul_f32 v[56:57], v[60:61], s[0:1] op_sel_hi:[1,0]
	v_pk_fma_f32 v[58:59], v[60:61], s[0:1], v[64:65] op_sel_hi:[1,0,1]
	s_nop 0
	v_pk_add_f32 v[60:61], v[58:59], v[56:57] op_sel:[0,1] op_sel_hi:[1,0] neg_lo:[0,1] neg_hi:[0,1]
	v_pk_add_f32 v[56:57], v[58:59], v[56:57] op_sel:[0,1] op_sel_hi:[1,0]
	v_add_u32_e32 v58, 0x400, v87
	v_mov_b32_e32 v61, v57
	v_pk_fma_f32 v[56:57], v[64:65], 2.0, v[60:61] op_sel_hi:[1,0,1] neg_lo:[0,0,1] neg_hi:[0,0,1]
	v_add_u32_e32 v59, 0x800, v87
	ds_write2_b64 v58, v[56:57], v[98:99] offset0:112 offset1:192
	ds_write2_b64 v59, v[100:101], v[62:63] offset0:144 offset1:224
	ds_write_b64 v87, v[60:61] offset:4480
	s_and_saveexec_b64 s[0:1], s[4:5]
	s_cbranch_execz .LBB0_11
; %bb.10:
	v_add_u32_e32 v56, 0x1000, v87
	ds_write2_b64 v87, v[40:41], v[42:43] offset0:64 offset1:144
	ds_write2_b64 v58, v[44:45], v[46:47] offset0:96 offset1:176
	;; [unrolled: 1-line block ×4, first 2 shown]
.LBB0_11:
	s_or_b64 exec, exec, s[0:1]
	v_mov_b32_e32 v93, 0
	v_lshl_add_u64 v[60:61], s[16:17], 0, v[92:93]
	v_add_co_u32_e32 v56, vcc, 0x1000, v60
	s_waitcnt lgkmcnt(0)
	s_nop 0
	v_addc_co_u32_e32 v57, vcc, 0, v61, vcc
	s_barrier
	global_load_dwordx2 v[62:63], v[56:57], off offset:1024
	s_mov_b64 s[0:1], 0x1400
	v_lshl_add_u64 v[56:57], v[60:61], 0, s[0:1]
	v_add_co_u32_e32 v60, vcc, 0x2000, v60
	global_load_dwordx2 v[92:93], v[56:57], off offset:640
	global_load_dwordx2 v[100:101], v[56:57], off offset:1280
	;; [unrolled: 1-line block ×5, first 2 shown]
	v_addc_co_u32_e32 v61, vcc, 0, v61, vcc
	global_load_dwordx2 v[108:109], v[60:61], off offset:1408
	global_load_dwordx2 v[110:111], v[56:57], off offset:3840
	ds_read_b64 v[60:61], v117
	s_movk_i32 s6, 0x1000
	s_waitcnt vmcnt(7) lgkmcnt(0)
	v_mul_f32_e32 v64, v61, v63
	v_mul_f32_e32 v65, v60, v63
	v_fma_f32 v64, v60, v62, -v64
	v_fmac_f32_e32 v65, v61, v62
	ds_write_b64 v117, v[64:65]
	ds_read2_b64 v[60:63], v87 offset0:80 offset1:160
	ds_read2_b64 v[64:67], v58 offset0:112 offset1:192
	;; [unrolled: 1-line block ×3, first 2 shown]
	ds_read_b64 v[112:113], v87 offset:4480
	s_waitcnt vmcnt(4) lgkmcnt(2)
	v_mul_f32_e32 v123, v65, v103
	v_mul_f32_e32 v114, v61, v93
	;; [unrolled: 1-line block ×6, first 2 shown]
	s_waitcnt vmcnt(3)
	v_mul_f32_e32 v124, v67, v105
	v_mul_f32_e32 v103, v66, v105
	s_waitcnt vmcnt(2) lgkmcnt(1)
	v_mul_f32_e32 v125, v97, v107
	v_mul_f32_e32 v105, v96, v107
	s_waitcnt vmcnt(0)
	v_mul_f32_e32 v126, v99, v111
	v_mul_f32_e32 v107, v98, v111
	s_waitcnt lgkmcnt(0)
	v_mul_f32_e32 v127, v113, v109
	v_mul_f32_e32 v111, v112, v109
	v_fma_f32 v114, v60, v92, -v114
	v_fmac_f32_e32 v115, v61, v92
	v_fma_f32 v92, v62, v100, -v122
	v_fmac_f32_e32 v93, v63, v100
	;; [unrolled: 2-line block ×7, first 2 shown]
	ds_write2_b64 v87, v[114:115], v[92:93] offset0:80 offset1:160
	ds_write2_b64 v58, v[100:101], v[102:103] offset0:112 offset1:192
	;; [unrolled: 1-line block ×3, first 2 shown]
	ds_write_b64 v87, v[110:111] offset:4480
	s_and_saveexec_b64 s[0:1], s[4:5]
	s_cbranch_execz .LBB0_13
; %bb.12:
	global_load_dwordx2 v[62:63], v[56:57], off offset:512
	ds_read2_b64 v[58:61], v87 offset0:64 offset1:144
	v_add_u32_e32 v66, 0x400, v87
	s_waitcnt vmcnt(0) lgkmcnt(0)
	v_mul_f32_e32 v64, v59, v63
	v_mul_f32_e32 v65, v58, v63
	v_fma_f32 v64, v58, v62, -v64
	v_fmac_f32_e32 v65, v59, v62
	global_load_dwordx2 v[58:59], v[56:57], off offset:1152
	s_waitcnt vmcnt(0)
	v_mul_f32_e32 v62, v61, v59
	v_mul_f32_e32 v63, v60, v59
	v_fma_f32 v62, v60, v58, -v62
	v_fmac_f32_e32 v63, v61, v58
	ds_write2_b64 v87, v[64:65], v[62:63] offset0:64 offset1:144
	global_load_dwordx2 v[62:63], v[56:57], off offset:1792
	ds_read2_b64 v[58:61], v66 offset0:96 offset1:176
	s_waitcnt vmcnt(0) lgkmcnt(0)
	v_mul_f32_e32 v64, v59, v63
	v_mul_f32_e32 v65, v58, v63
	v_fma_f32 v64, v58, v62, -v64
	v_fmac_f32_e32 v65, v59, v62
	global_load_dwordx2 v[58:59], v[56:57], off offset:2432
	s_waitcnt vmcnt(0)
	v_mul_f32_e32 v62, v61, v59
	v_mul_f32_e32 v63, v60, v59
	v_fma_f32 v62, v60, v58, -v62
	v_fmac_f32_e32 v63, v61, v58
	ds_write2_b64 v66, v[64:65], v[62:63] offset0:96 offset1:176
	global_load_dwordx2 v[62:63], v[56:57], off offset:3072
	v_add_u32_e32 v66, 0x800, v87
	ds_read2_b64 v[58:61], v66 offset0:128 offset1:208
	s_waitcnt vmcnt(0) lgkmcnt(0)
	v_mul_f32_e32 v64, v59, v63
	v_mul_f32_e32 v65, v58, v63
	v_fma_f32 v64, v58, v62, -v64
	v_fmac_f32_e32 v65, v59, v62
	global_load_dwordx2 v[58:59], v[56:57], off offset:3712
	v_add_co_u32_e32 v56, vcc, s6, v56
	s_waitcnt vmcnt(0)
	v_mul_f32_e32 v62, v61, v59
	v_mul_f32_e32 v63, v60, v59
	v_fma_f32 v62, v60, v58, -v62
	v_fmac_f32_e32 v63, v61, v58
	v_addc_co_u32_e32 v57, vcc, 0, v57, vcc
	ds_write2_b64 v66, v[64:65], v[62:63] offset0:128 offset1:208
	global_load_dwordx2 v[62:63], v[56:57], off offset:256
	v_add_u32_e32 v66, 0x1000, v87
	global_load_dwordx2 v[56:57], v[56:57], off offset:896
	ds_read2_b64 v[58:61], v66 offset0:32 offset1:112
	s_waitcnt vmcnt(1) lgkmcnt(0)
	v_mul_f32_e32 v64, v59, v63
	v_mul_f32_e32 v65, v58, v63
	v_fma_f32 v64, v58, v62, -v64
	v_fmac_f32_e32 v65, v59, v62
	s_waitcnt vmcnt(0)
	v_mul_f32_e32 v58, v61, v57
	v_mul_f32_e32 v59, v60, v57
	v_fma_f32 v58, v60, v56, -v58
	v_fmac_f32_e32 v59, v61, v56
	ds_write2_b64 v66, v[64:65], v[58:59] offset0:32 offset1:112
.LBB0_13:
	s_or_b64 exec, exec, s[0:1]
	v_add_u32_e32 v93, 0x400, v87
	v_add_u32_e32 v92, 0x800, v87
	s_waitcnt lgkmcnt(0)
	s_barrier
	ds_read2_b64 v[56:59], v87 offset0:80 offset1:160
	ds_read2_b64 v[60:63], v93 offset0:112 offset1:192
	;; [unrolled: 1-line block ×3, first 2 shown]
	ds_read_b64 v[112:113], v117
	ds_read_b64 v[114:115], v87 offset:4480
	s_and_saveexec_b64 s[0:1], s[4:5]
	s_cbranch_execz .LBB0_15
; %bb.14:
	ds_read2_b64 v[40:43], v87 offset0:64 offset1:144
	ds_read2_b64 v[44:47], v93 offset0:96 offset1:176
	;; [unrolled: 1-line block ×3, first 2 shown]
	v_add_u32_e32 v52, 0x1000, v87
	ds_read2_b64 v[52:55], v52 offset0:32 offset1:112
.LBB0_15:
	s_or_b64 exec, exec, s[0:1]
	s_waitcnt lgkmcnt(0)
	v_pk_add_f32 v[52:53], v[44:45], v[52:53] neg_lo:[0,1] neg_hi:[0,1]
	v_pk_add_f32 v[54:55], v[46:47], v[54:55] neg_lo:[0,1] neg_hi:[0,1]
	;; [unrolled: 1-line block ×4, first 2 shown]
	v_add_f32_e32 v49, v40, v40
	v_pk_add_f32 v[50:51], v[42:43], v[50:51] neg_lo:[0,1] neg_hi:[0,1]
	v_mov_b32_e32 v48, v53
	v_mov_b32_e32 v40, v55
	v_fma_f32 v134, v44, 2.0, -v52
	v_fma_f32 v44, v45, 2.0, -v53
	v_pk_add_f32 v[128:129], v[48:49], v[62:63] op_sel_hi:[1,0]
	v_pk_add_f32 v[130:131], v[48:49], v[62:63] op_sel_hi:[1,0] neg_lo:[0,1] neg_hi:[0,1]
	v_mov_b32_e32 v49, v52
	v_pk_add_f32 v[52:53], v[40:41], v[50:51]
	v_pk_add_f32 v[124:125], v[58:59], v[66:67] neg_lo:[0,1] neg_hi:[0,1]
	v_pk_add_f32 v[126:127], v[56:57], v[64:65] neg_lo:[0,1] neg_hi:[0,1]
	v_add_f32_e32 v64, v62, v62
	v_add_f32_e32 v66, v50, v50
	v_mov_b32_e32 v65, v63
	v_mov_b32_e32 v48, v128
	;; [unrolled: 1-line block ×4, first 2 shown]
	v_pk_add_f32 v[48:49], v[64:65], v[48:49] neg_lo:[0,1] neg_hi:[0,1]
	v_pk_add_f32 v[64:65], v[66:67], v[52:53] neg_lo:[0,1] neg_hi:[0,1]
	v_mov_b32_e32 v133, v52
	v_fma_f32 v132, v51, 2.0, -v65
	s_mov_b32 s0, 0x3f3504f3
	v_pk_mul_f32 v[52:53], v[132:133], s[0:1] op_sel_hi:[1,0]
	v_mov_b32_e32 v62, v41
	v_mov_b32_e32 v40, v63
	;; [unrolled: 1-line block ×3, first 2 shown]
	v_pk_fma_f32 v[40:41], v[62:63], 2.0, v[40:41] op_sel_hi:[1,0,1] neg_lo:[0,0,1] neg_hi:[0,0,1]
	v_mov_b32_e32 v62, v53
	v_mov_b32_e32 v45, v52
	;; [unrolled: 1-line block ×3, first 2 shown]
	v_pk_add_f32 v[44:45], v[40:41], v[44:45] neg_lo:[0,1] neg_hi:[0,1]
	v_pk_add_f32 v[134:135], v[128:129], v[52:53] op_sel:[0,1] op_sel_hi:[1,0]
	v_pk_add_f32 v[52:53], v[130:131], v[62:63] neg_lo:[0,1] neg_hi:[0,1]
	v_pk_fma_f32 v[42:43], v[42:43], 2.0, v[50:51] op_sel_hi:[1,0,1] neg_lo:[0,0,1] neg_hi:[0,0,1]
	v_pk_fma_f32 v[46:47], v[46:47], 2.0, v[54:55] op_sel_hi:[1,0,1] neg_lo:[0,0,1] neg_hi:[0,0,1]
	v_mov_b32_e32 v50, v131
	v_pk_add_f32 v[46:47], v[42:43], v[46:47] neg_lo:[0,1] neg_hi:[0,1]
	v_mov_b32_e32 v51, v40
	v_mov_b32_e32 v130, v53
	;; [unrolled: 1-line block ×3, first 2 shown]
	v_pk_mul_f32 v[66:67], v[64:65], s[0:1] op_sel_hi:[1,0]
	v_pk_fma_f32 v[42:43], v[42:43], 2.0, v[46:47] op_sel_hi:[1,0,1] neg_lo:[0,0,1] neg_hi:[0,0,1]
	v_pk_fma_f32 v[54:55], v[50:51], 2.0, v[130:131] op_sel_hi:[1,0,1] neg_lo:[0,0,1] neg_hi:[0,0,1]
	v_mov_b32_e32 v135, v53
	v_mov_b32_e32 v50, v46
	v_pk_add_f32 v[52:53], v[54:55], v[42:43] neg_lo:[0,1] neg_hi:[0,1]
	v_pk_fma_f32 v[42:43], v[64:65], s[0:1], v[48:49] op_sel_hi:[1,0,1] neg_lo:[1,0,0] neg_hi:[1,0,0]
	v_pk_fma_f32 v[64:65], v[64:65], s[0:1], v[48:49] op_sel_hi:[1,0,1]
	v_mov_b32_e32 v46, v67
	v_pk_add_f32 v[114:115], v[60:61], v[114:115] neg_lo:[0,1] neg_hi:[0,1]
	v_mov_b32_e32 v51, v66
	v_pk_add_f32 v[66:67], v[46:47], v[134:135]
	v_pk_fma_f32 v[64:65], v[132:133], s[0:1], v[64:65] op_sel_hi:[1,0,1] neg_lo:[1,0,0] neg_hi:[1,0,0]
	v_mov_b32_e32 v129, v49
	v_mov_b32_e32 v64, v66
	v_pk_fma_f32 v[112:113], v[112:113], 2.0, v[122:123] op_sel_hi:[1,0,1] neg_lo:[0,0,1] neg_hi:[0,0,1]
	v_pk_fma_f32 v[58:59], v[58:59], 2.0, v[124:125] op_sel_hi:[1,0,1] neg_lo:[0,0,1] neg_hi:[0,0,1]
	;; [unrolled: 1-line block ×5, first 2 shown]
	v_pk_add_f32 v[128:129], v[112:113], v[58:59] neg_lo:[0,1] neg_hi:[0,1]
	v_pk_add_f32 v[60:61], v[56:57], v[60:61] neg_lo:[0,1] neg_hi:[0,1]
	;; [unrolled: 1-line block ×3, first 2 shown]
	v_pk_fma_f32 v[58:59], v[112:113], 2.0, v[128:129] op_sel_hi:[1,0,1] neg_lo:[0,0,1] neg_hi:[0,0,1]
	v_pk_fma_f32 v[56:57], v[56:57], 2.0, v[60:61] op_sel_hi:[1,0,1] neg_lo:[0,0,1] neg_hi:[0,0,1]
	v_mov_b32_e32 v62, v67
	v_mov_b32_e32 v63, v50
	v_pk_add_f32 v[56:57], v[58:59], v[56:57] neg_lo:[0,1] neg_hi:[0,1]
	v_pk_fma_f32 v[44:45], v[130:131], 2.0, v[62:63] op_sel_hi:[1,0,1] neg_lo:[0,0,1] neg_hi:[0,0,1]
	v_pk_fma_f32 v[112:113], v[58:59], 2.0, v[56:57] op_sel_hi:[1,0,1] neg_lo:[0,0,1] neg_hi:[0,0,1]
	v_pk_add_f32 v[130:131], v[122:123], v[124:125] op_sel:[0,1] op_sel_hi:[1,0]
	v_pk_add_f32 v[58:59], v[122:123], v[124:125] op_sel:[0,1] op_sel_hi:[1,0] neg_lo:[0,1] neg_hi:[0,1]
	v_pk_add_f32 v[124:125], v[126:127], v[114:115] op_sel:[0,1] op_sel_hi:[1,0]
	v_mov_b32_e32 v131, v59
	v_pk_add_f32 v[58:59], v[126:127], v[114:115] op_sel:[0,1] op_sel_hi:[1,0] neg_lo:[0,1] neg_hi:[0,1]
	v_pk_fma_f32 v[122:123], v[122:123], 2.0, v[130:131] op_sel_hi:[1,0,1] neg_lo:[0,0,1] neg_hi:[0,0,1]
	v_mov_b32_e32 v125, v59
	v_pk_fma_f32 v[58:59], v[126:127], 2.0, v[124:125] op_sel_hi:[1,0,1] neg_lo:[0,0,1] neg_hi:[0,0,1]
	s_nop 0
	v_pk_mul_f32 v[114:115], v[58:59], s[0:1] op_sel_hi:[1,0]
	v_pk_fma_f32 v[126:127], v[58:59], s[0:1], v[122:123] op_sel_hi:[1,0,1] neg_lo:[1,0,0] neg_hi:[1,0,0]
	s_barrier
	v_pk_add_f32 v[58:59], v[126:127], v[114:115] op_sel:[0,1] op_sel_hi:[1,0]
	v_pk_add_f32 v[126:127], v[126:127], v[114:115] op_sel:[0,1] op_sel_hi:[1,0] neg_lo:[0,1] neg_hi:[0,1]
	s_nop 0
	v_mov_b32_e32 v59, v127
	v_pk_fma_f32 v[114:115], v[122:123], 2.0, v[58:59] op_sel_hi:[1,0,1] neg_lo:[0,0,1] neg_hi:[0,0,1]
	ds_write_b128 v119, v[112:115]
	v_pk_add_f32 v[112:113], v[128:129], v[60:61] op_sel:[0,1] op_sel_hi:[1,0]
	v_pk_add_f32 v[60:61], v[128:129], v[60:61] op_sel:[0,1] op_sel_hi:[1,0] neg_lo:[0,1] neg_hi:[0,1]
	v_pk_fma_f32 v[42:43], v[132:133], s[0:1], v[42:43] op_sel_hi:[1,0,1]
	v_mov_b32_e32 v113, v61
	v_pk_fma_f32 v[122:123], v[128:129], 2.0, v[112:113] op_sel_hi:[1,0,1] neg_lo:[0,0,1] neg_hi:[0,0,1]
	v_pk_mul_f32 v[128:129], v[124:125], s[0:1] op_sel_hi:[1,0]
	v_pk_fma_f32 v[124:125], v[124:125], s[0:1], v[130:131] op_sel_hi:[1,0,1]
	v_mov_b32_e32 v92, v24
	v_pk_add_f32 v[114:115], v[124:125], v[128:129] op_sel:[0,1] op_sel_hi:[1,0]
	v_pk_add_f32 v[128:129], v[124:125], v[128:129] op_sel:[0,1] op_sel_hi:[1,0] neg_lo:[0,1] neg_hi:[0,1]
	v_mov_b32_e32 v93, v24
	v_mov_b32_e32 v115, v129
	v_mov_b32_e32 v24, v25
	v_mov_b32_e32 v104, v26
	v_mov_b32_e32 v105, v26
	v_mov_b32_e32 v26, v27
	v_mov_b32_e32 v96, v20
	v_mov_b32_e32 v97, v20
	v_mov_b32_e32 v20, v21
	v_mov_b32_e32 v106, v22
	v_mov_b32_e32 v107, v22
	v_mov_b32_e32 v22, v23
	v_mov_b32_e32 v98, v16
	v_mov_b32_e32 v99, v16
	v_mov_b32_e32 v16, v17
	v_mov_b32_e32 v108, v18
	v_mov_b32_e32 v109, v18
	v_mov_b32_e32 v18, v19
	v_mov_b32_e32 v100, v8
	v_mov_b32_e32 v101, v8
	v_mov_b32_e32 v8, v9
	v_mov_b32_e32 v110, v10
	v_mov_b32_e32 v111, v10
	v_mov_b32_e32 v10, v11
	v_mov_b32_e32 v102, v88
	v_mov_b32_e32 v103, v88
	v_mov_b32_e32 v88, v89
	v_mov_b32_e32 v43, v65
	v_pk_fma_f32 v[124:125], v[130:131], 2.0, v[114:115] op_sel_hi:[1,0,1] neg_lo:[0,0,1] neg_hi:[0,0,1]
	ds_write_b128 v119, v[122:125] offset:16
	ds_write_b128 v119, v[56:59] offset:32
	;; [unrolled: 1-line block ×3, first 2 shown]
	s_and_saveexec_b64 s[0:1], s[4:5]
	s_cbranch_execz .LBB0_17
; %bb.16:
	v_mov_b32_e32 v49, v41
	v_mov_b32_e32 v40, v42
	;; [unrolled: 1-line block ×3, first 2 shown]
	v_add_lshl_u32 v58, v118, v120, 3
	v_pk_fma_f32 v[54:55], v[54:55], 2.0, v[52:53] op_sel_hi:[1,0,1] neg_lo:[0,0,1] neg_hi:[0,0,1]
	v_pk_fma_f32 v[56:57], v[48:49], 2.0, v[40:41] op_sel_hi:[1,0,1] neg_lo:[0,0,1] neg_hi:[0,0,1]
	ds_write_b128 v58, v[54:57]
	ds_write_b128 v58, v[44:47] offset:16
	v_mov_b32_e32 v54, v42
	v_mov_b32_e32 v55, v51
	ds_write_b128 v58, v[52:55] offset:32
	ds_write_b128 v58, v[62:65] offset:48
.LBB0_17:
	s_or_b64 exec, exec, s[0:1]
	s_waitcnt lgkmcnt(0)
	s_barrier
	ds_read2st64_b64 v[54:57], v87 offset0:1 offset1:2
	ds_read_b64 v[40:41], v117
	ds_read2st64_b64 v[58:61], v87 offset0:3 offset1:4
	ds_read2st64_b64 v[62:65], v87 offset0:5 offset1:6
	;; [unrolled: 1-line block ×3, first 2 shown]
	s_waitcnt lgkmcnt(4)
	v_pk_mul_f32 v[26:27], v[26:27], v[56:57]
	s_mov_b32 s0, 0x3f737871
	v_pk_fma_f32 v[48:49], v[104:105], v[56:57], v[26:27] op_sel:[0,0,1] op_sel_hi:[1,1,0]
	v_pk_fma_f32 v[26:27], v[104:105], v[56:57], v[26:27] op_sel:[0,0,1] op_sel_hi:[1,1,0] neg_lo:[0,0,1] neg_hi:[0,0,1]
	s_waitcnt lgkmcnt(2)
	v_pk_mul_f32 v[22:23], v[22:23], v[60:61]
	v_mov_b32_e32 v49, v27
	v_pk_fma_f32 v[26:27], v[106:107], v[60:61], v[22:23] op_sel:[0,0,1] op_sel_hi:[1,1,0]
	v_pk_fma_f32 v[22:23], v[106:107], v[60:61], v[22:23] op_sel:[0,0,1] op_sel_hi:[1,1,0] neg_lo:[0,0,1] neg_hi:[0,0,1]
	s_waitcnt lgkmcnt(1)
	v_pk_mul_f32 v[18:19], v[18:19], v[64:65]
	v_mov_b32_e32 v27, v23
	;; [unrolled: 5-line block ×3, first 2 shown]
	v_pk_fma_f32 v[18:19], v[110:111], v[114:115], v[10:11] op_sel:[0,0,1] op_sel_hi:[1,1,0]
	v_pk_fma_f32 v[10:11], v[110:111], v[114:115], v[10:11] op_sel:[0,0,1] op_sel_hi:[1,1,0] neg_lo:[0,0,1] neg_hi:[0,0,1]
	s_mov_b32 s12, 0x3f167918
	v_mov_b32_e32 v19, v11
	v_pk_add_f32 v[10:11], v[26:27], v[22:23]
	v_pk_add_f32 v[56:57], v[48:49], v[18:19] neg_lo:[0,1] neg_hi:[0,1]
	v_pk_fma_f32 v[10:11], v[10:11], 0.5, v[40:41] op_sel_hi:[1,0,1] neg_lo:[1,0,0] neg_hi:[1,0,0]
	v_pk_add_f32 v[64:65], v[48:49], v[26:27] neg_lo:[0,1] neg_hi:[0,1]
	v_pk_add_f32 v[104:105], v[18:19], v[22:23] neg_lo:[0,1] neg_hi:[0,1]
	;; [unrolled: 1-line block ×3, first 2 shown]
	s_mov_b32 s13, 0x3f4f1bbd
	v_pk_add_f32 v[64:65], v[64:65], v[104:105]
	v_pk_fma_f32 v[104:105], v[56:57], s[0:1], v[10:11] op_sel:[1,0,0] op_sel_hi:[0,0,1]
	v_pk_fma_f32 v[10:11], v[56:57], s[0:1], v[10:11] op_sel:[1,0,0] op_sel_hi:[0,0,1] neg_lo:[1,0,0] neg_hi:[1,0,0]
	v_pk_fma_f32 v[106:107], v[60:61], s[12:13], v[10:11] op_sel:[1,0,0] op_sel_hi:[0,0,1] neg_lo:[1,0,0] neg_hi:[1,0,0]
	v_pk_fma_f32 v[104:105], v[60:61], s[12:13], v[104:105] op_sel:[1,0,0] op_sel_hi:[0,0,1]
	s_mov_b32 s6, 0x3e9e377a
	v_mov_b32_e32 v10, v104
	v_mov_b32_e32 v11, v107
	v_pk_fma_f32 v[108:109], v[64:65], s[6:7], v[10:11] op_sel_hi:[1,0,1]
	v_pk_add_f32 v[10:11], v[26:27], v[48:49] neg_lo:[0,1] neg_hi:[0,1]
	v_pk_add_f32 v[110:111], v[22:23], v[18:19] neg_lo:[0,1] neg_hi:[0,1]
	v_pk_mul_f32 v[24:25], v[24:25], v[54:55]
	v_pk_add_f32 v[110:111], v[10:11], v[110:111]
	ds_read_b64 v[10:11], v87 offset:4608
	v_pk_mul_f32 v[20:21], v[20:21], v[58:59]
	v_pk_mul_f32 v[16:17], v[16:17], v[62:63]
	;; [unrolled: 1-line block ×3, first 2 shown]
	v_pk_fma_f32 v[114:115], v[92:93], v[54:55], v[24:25] op_sel:[0,0,1] op_sel_hi:[1,1,0]
	s_waitcnt lgkmcnt(0)
	v_pk_mul_f32 v[88:89], v[88:89], v[10:11]
	v_pk_fma_f32 v[24:25], v[92:93], v[54:55], v[24:25] op_sel:[0,0,1] op_sel_hi:[1,1,0] neg_lo:[0,0,1] neg_hi:[0,0,1]
	v_pk_fma_f32 v[54:55], v[96:97], v[58:59], v[20:21] op_sel:[0,0,1] op_sel_hi:[1,1,0]
	v_pk_fma_f32 v[20:21], v[96:97], v[58:59], v[20:21] op_sel:[0,0,1] op_sel_hi:[1,1,0] neg_lo:[0,0,1] neg_hi:[0,0,1]
	v_pk_fma_f32 v[58:59], v[98:99], v[62:63], v[16:17] op_sel:[0,0,1] op_sel_hi:[1,1,0]
	;; [unrolled: 2-line block ×3, first 2 shown]
	v_pk_fma_f32 v[92:93], v[102:103], v[10:11], v[88:89] op_sel:[0,0,1] op_sel_hi:[1,1,0]
	v_pk_fma_f32 v[8:9], v[100:101], v[112:113], v[8:9] op_sel:[0,0,1] op_sel_hi:[1,1,0] neg_lo:[0,0,1] neg_hi:[0,0,1]
	v_pk_fma_f32 v[10:11], v[102:103], v[10:11], v[88:89] op_sel:[0,0,1] op_sel_hi:[1,1,0] neg_lo:[0,0,1] neg_hi:[0,0,1]
	v_mov_b32_e32 v100, v54
	v_mov_b32_e32 v101, v92
	;; [unrolled: 1-line block ×4, first 2 shown]
	v_pk_add_f32 v[112:113], v[100:101], v[102:103] neg_lo:[0,1] neg_hi:[0,1]
	v_mov_b32_e32 v59, v17
	v_mov_b32_e32 v63, v9
	;; [unrolled: 1-line block ×5, first 2 shown]
	v_pk_add_f32 v[88:89], v[58:59], v[62:63]
	v_pk_add_f32 v[98:99], v[58:59], v[62:63] neg_lo:[0,1] neg_hi:[0,1]
	v_pk_add_f32 v[112:113], v[112:113], v[8:9]
	v_fma_f32 v10, -0.5, v88, v114
	v_pk_add_f32 v[96:97], v[54:55], v[92:93] neg_lo:[0,1] neg_hi:[0,1]
	v_mov_b32_e32 v113, v99
	s_mov_b32 s7, s12
	v_fmamk_f32 v16, v97, 0xbf737871, v10
	v_pk_mul_f32 v[112:113], v[112:113], s[6:7]
	v_fmac_f32_e32 v10, 0x3f737871, v97
	v_sub_f32_e32 v8, v16, v113
	v_add_f32_e32 v16, v112, v8
	v_add_f32_e32 v8, v113, v10
	v_pk_add_f32 v[100:101], v[102:103], v[100:101] neg_lo:[0,1] neg_hi:[0,1]
	v_add_f32_e32 v20, v112, v8
	v_mov_b32_e32 v8, v101
	v_pk_add_f32 v[112:113], v[54:55], v[92:93]
	v_mov_b32_e32 v10, v114
	v_pk_add_f32 v[100:101], v[100:101], v[8:9]
	v_fmac_f32_e32 v10, -0.5, v112
	v_mov_b32_e32 v101, v97
	v_fmamk_f32 v24, v99, 0x3f737871, v10
	v_pk_mul_f32 v[100:101], v[100:101], s[6:7]
	v_fmac_f32_e32 v10, 0xbf737871, v99
	v_sub_f32_e32 v8, v24, v101
	v_mov_b32_e32 v115, v25
	v_add_f32_e32 v24, v100, v8
	v_add_f32_e32 v8, v101, v10
	;; [unrolled: 1-line block ×3, first 2 shown]
	v_pk_add_f32 v[54:55], v[114:115], v[54:55]
	v_mov_b32_e32 v10, v21
	v_mov_b32_e32 v8, v17
	v_pk_add_f32 v[54:55], v[54:55], v[58:59]
	v_pk_add_f32 v[58:59], v[10:11], v[8:9] neg_lo:[0,1] neg_hi:[0,1]
	v_pk_add_f32 v[54:55], v[54:55], v[62:63]
	v_fma_f32 v63, -0.5, v89, v25
	v_mov_b32_e32 v62, v59
	v_pk_add_f32 v[58:59], v[58:59], v[62:63]
	v_pk_add_f32 v[8:9], v[8:9], v[10:11] neg_lo:[0,1] neg_hi:[0,1]
	v_mov_b32_e32 v59, v98
	v_fmamk_f32 v89, v96, 0x3f737871, v63
	v_pk_mul_f32 v[58:59], v[58:59], s[6:7]
	v_mov_b32_e32 v10, v9
	v_add_f32_e32 v17, v59, v89
	v_fmac_f32_e32 v63, 0xbf737871, v96
	v_pk_add_f32 v[8:9], v[8:9], v[10:11]
	v_add_f32_e32 v62, v58, v17
	v_sub_f32_e32 v17, v63, v59
	v_fmac_f32_e32 v25, -0.5, v113
	v_mov_b32_e32 v9, v96
	v_add_f32_e32 v58, v58, v17
	v_fmamk_f32 v17, v98, 0xbf737871, v25
	v_pk_mul_f32 v[8:9], v[8:9], s[6:7]
	v_fmac_f32_e32 v25, 0x3f737871, v98
	v_add_f32_e32 v10, v9, v17
	v_sub_f32_e32 v9, v25, v9
	v_pk_add_f32 v[54:55], v[54:55], v[92:93]
	v_add_f32_e32 v92, v8, v10
	v_add_f32_e32 v8, v8, v9
	s_mov_b32 s1, s6
	s_mov_b32 s16, 0xbe9e377a
	;; [unrolled: 1-line block ×3, first 2 shown]
	v_pk_mul_f32 v[8:9], v[8:9], s[0:1] op_sel_hi:[0,1]
	v_pk_fma_f32 v[88:89], v[88:89], s[16:17], v[8:9] op_sel_hi:[0,1,1] neg_lo:[0,0,1] neg_hi:[0,0,1]
	v_pk_add_f32 v[8:9], v[40:41], v[48:49]
	s_mov_b32 s16, 0xbf4f1bbd
	v_pk_add_f32 v[8:9], v[8:9], v[26:27]
	s_mov_b32 s17, s12
	v_pk_add_f32 v[8:9], v[8:9], v[22:23]
	v_mov_b32_e32 v107, v105
	v_pk_add_f32 v[22:23], v[8:9], v[18:19]
	v_pk_mul_f32 v[8:9], v[58:59], s[12:13] op_sel_hi:[0,1]
	v_pk_fma_f32 v[20:21], v[20:21], s[16:17], v[8:9] op_sel_hi:[0,1,1] neg_lo:[0,0,1] neg_hi:[0,0,1]
	s_mov_b32 s16, s13
	v_pk_mul_f32 v[58:59], v[62:63], s[12:13] op_sel_hi:[0,1]
	v_pk_fma_f32 v[62:63], v[16:17], s[16:17], v[58:59] neg_lo:[0,0,1] neg_hi:[0,0,1]
	v_pk_fma_f32 v[16:17], v[16:17], s[16:17], v[58:59] op_sel_hi:[0,1,1]
	v_pk_fma_f32 v[26:27], v[64:65], s[6:7], v[106:107] op_sel_hi:[1,0,1]
	v_mov_b32_e32 v63, v17
	v_pk_add_f32 v[8:9], v[22:23], v[54:55]
	v_pk_add_f32 v[16:17], v[26:27], v[62:63]
	s_barrier
	ds_write2_b64 v121, v[8:9], v[16:17] offset1:8
	v_pk_add_f32 v[8:9], v[48:49], v[18:19]
	v_pk_add_f32 v[10:11], v[108:109], v[20:21] neg_lo:[0,1] neg_hi:[0,1]
	v_pk_fma_f32 v[8:9], v[8:9], 0.5, v[40:41] op_sel_hi:[1,0,1] neg_lo:[1,0,0] neg_hi:[1,0,0]
	s_nop 0
	v_pk_fma_f32 v[16:17], v[60:61], s[0:1], v[8:9] op_sel:[1,0,0] op_sel_hi:[0,0,1] neg_lo:[1,0,0] neg_hi:[1,0,0]
	v_pk_fma_f32 v[8:9], v[60:61], s[0:1], v[8:9] op_sel:[1,0,0] op_sel_hi:[0,0,1]
	v_pk_fma_f32 v[16:17], v[56:57], s[12:13], v[16:17] op_sel:[1,0,0] op_sel_hi:[0,0,1]
	v_pk_fma_f32 v[8:9], v[56:57], s[12:13], v[8:9] op_sel:[1,0,0] op_sel_hi:[0,0,1] neg_lo:[1,0,0] neg_hi:[1,0,0]
	v_mov_b32_e32 v18, v8
	v_mov_b32_e32 v19, v17
	;; [unrolled: 1-line block ×3, first 2 shown]
	v_pk_fma_f32 v[18:19], v[110:111], s[6:7], v[18:19] op_sel_hi:[1,0,1]
	v_pk_fma_f32 v[16:17], v[110:111], s[6:7], v[16:17] op_sel_hi:[1,0,1]
	s_mov_b32 s7, s0
	v_pk_mul_f32 v[8:9], v[92:93], s[0:1] op_sel_hi:[0,1]
	v_pk_fma_f32 v[40:41], v[24:25], s[6:7], v[8:9] neg_lo:[0,0,1] neg_hi:[0,0,1]
	v_pk_fma_f32 v[8:9], v[24:25], s[6:7], v[8:9] op_sel_hi:[0,1,1]
	v_mov_b32_e32 v41, v9
	v_pk_add_f32 v[24:25], v[18:19], v[40:41]
	v_pk_add_f32 v[8:9], v[16:17], v[88:89] neg_lo:[0,1] neg_hi:[0,1]
	v_pk_add_f32 v[16:17], v[16:17], v[88:89]
	ds_write2_b64 v121, v[24:25], v[16:17] offset0:16 offset1:24
	v_pk_add_f32 v[16:17], v[108:109], v[20:21]
	v_pk_add_f32 v[20:21], v[22:23], v[54:55] neg_lo:[0,1] neg_hi:[0,1]
	ds_write2_b64 v121, v[16:17], v[20:21] offset0:32 offset1:40
	v_pk_add_f32 v[16:17], v[26:27], v[62:63] neg_lo:[0,1] neg_hi:[0,1]
	v_pk_add_f32 v[18:19], v[18:19], v[40:41] neg_lo:[0,1] neg_hi:[0,1]
	ds_write2_b64 v121, v[16:17], v[18:19] offset0:48 offset1:56
	ds_write2_b64 v121, v[8:9], v[10:11] offset0:64 offset1:72
	v_add_u32_e32 v16, 0x400, v87
	s_waitcnt lgkmcnt(0)
	s_barrier
	ds_read2_b64 v[20:23], v16 offset0:112 offset1:192
	v_add_u32_e32 v16, 0x800, v87
	ds_read2_b64 v[24:27], v87 offset0:80 offset1:160
	ds_read2_b64 v[16:19], v16 offset0:144 offset1:224
	ds_read_b64 v[54:55], v117
	ds_read_b64 v[56:57], v87 offset:4480
	s_and_saveexec_b64 s[0:1], s[2:3]
	s_xor_b64 s[0:1], exec, s[0:1]
	s_or_saveexec_b64 s[0:1], s[0:1]
	v_mov_b32_e32 v96, v28
	v_mov_b32_e32 v97, v28
	;; [unrolled: 1-line block ×21, first 2 shown]
	s_xor_b64 exec, exec, s[0:1]
	s_cbranch_execz .LBB0_19
; %bb.18:
	v_add_u32_e32 v40, 0x1000, v87
	v_add_u32_e32 v44, 0x800, v87
	ds_read2_b64 v[40:43], v40 offset0:32 offset1:112
	ds_read2_b64 v[48:51], v44 offset0:128 offset1:208
	v_add_u32_e32 v44, 0x400, v87
	ds_read2_b64 v[8:11], v87 offset0:64 offset1:144
	ds_read2_b64 v[44:47], v44 offset0:96 offset1:176
	s_waitcnt lgkmcnt(3)
	v_mov_b32_e32 v66, v42
	v_mov_b32_e32 v67, v40
	s_waitcnt lgkmcnt(2)
	v_mov_b32_e32 v42, v50
	v_mov_b32_e32 v50, v41
	v_mov_b64_e32 v[52:53], v[48:49]
.LBB0_19:
	s_or_b64 exec, exec, s[0:1]
	s_waitcnt lgkmcnt(3)
	v_pk_mul_f32 v[28:29], v[28:29], v[24:25]
	v_pk_mul_f32 v[30:31], v[30:31], v[26:27]
	v_pk_fma_f32 v[48:49], v[96:97], v[24:25], v[28:29] op_sel:[0,0,1] op_sel_hi:[1,1,0]
	v_pk_fma_f32 v[24:25], v[96:97], v[24:25], v[28:29] op_sel:[0,0,1] op_sel_hi:[1,1,0] neg_lo:[0,0,1] neg_hi:[0,0,1]
	v_pk_mul_f32 v[32:33], v[32:33], v[20:21]
	v_mov_b32_e32 v49, v25
	v_pk_fma_f32 v[24:25], v[92:93], v[26:27], v[30:31] op_sel:[0,0,1] op_sel_hi:[1,1,0]
	v_pk_fma_f32 v[26:27], v[92:93], v[26:27], v[30:31] op_sel:[0,0,1] op_sel_hi:[1,1,0] neg_lo:[0,0,1] neg_hi:[0,0,1]
	v_pk_mul_f32 v[34:35], v[34:35], v[22:23]
	v_mov_b32_e32 v25, v27
	v_pk_fma_f32 v[26:27], v[88:89], v[20:21], v[32:33] op_sel:[0,0,1] op_sel_hi:[1,1,0]
	v_pk_fma_f32 v[20:21], v[88:89], v[20:21], v[32:33] op_sel:[0,0,1] op_sel_hi:[1,1,0] neg_lo:[0,0,1] neg_hi:[0,0,1]
	s_waitcnt lgkmcnt(2)
	v_pk_mul_f32 v[36:37], v[36:37], v[16:17]
	v_mov_b32_e32 v27, v21
	v_pk_fma_f32 v[20:21], v[64:65], v[22:23], v[34:35] op_sel:[0,0,1] op_sel_hi:[1,1,0]
	v_pk_fma_f32 v[22:23], v[64:65], v[22:23], v[34:35] op_sel:[0,0,1] op_sel_hi:[1,1,0] neg_lo:[0,0,1] neg_hi:[0,0,1]
	v_pk_mul_f32 v[38:39], v[38:39], v[18:19]
	v_mov_b32_e32 v21, v23
	v_pk_fma_f32 v[22:23], v[62:63], v[16:17], v[36:37] op_sel:[0,0,1] op_sel_hi:[1,1,0]
	v_pk_fma_f32 v[16:17], v[62:63], v[16:17], v[36:37] op_sel:[0,0,1] op_sel_hi:[1,1,0] neg_lo:[0,0,1] neg_hi:[0,0,1]
	s_waitcnt lgkmcnt(0)
	v_pk_mul_f32 v[40:41], v[94:95], v[56:57]
	v_mov_b32_e32 v23, v17
	v_pk_fma_f32 v[16:17], v[60:61], v[18:19], v[38:39] op_sel:[0,0,1] op_sel_hi:[1,1,0]
	v_pk_fma_f32 v[18:19], v[60:61], v[18:19], v[38:39] op_sel:[0,0,1] op_sel_hi:[1,1,0] neg_lo:[0,0,1] neg_hi:[0,0,1]
	v_pk_fma_f32 v[28:29], v[58:59], v[56:57], v[40:41] op_sel:[0,0,1] op_sel_hi:[1,1,0] neg_lo:[0,0,1] neg_hi:[0,0,1]
	v_mov_b32_e32 v17, v19
	v_pk_fma_f32 v[18:19], v[58:59], v[56:57], v[40:41] op_sel:[0,0,1] op_sel_hi:[1,1,0]
	v_pk_add_f32 v[20:21], v[54:55], v[20:21] neg_lo:[0,1] neg_hi:[0,1]
	v_mov_b32_e32 v19, v29
	v_pk_add_f32 v[16:17], v[24:25], v[16:17] neg_lo:[0,1] neg_hi:[0,1]
	v_pk_add_f32 v[22:23], v[48:49], v[22:23] neg_lo:[0,1] neg_hi:[0,1]
	;; [unrolled: 1-line block ×3, first 2 shown]
	v_pk_fma_f32 v[28:29], v[54:55], 2.0, v[20:21] op_sel_hi:[1,0,1] neg_lo:[0,0,1] neg_hi:[0,0,1]
	v_pk_fma_f32 v[24:25], v[24:25], 2.0, v[16:17] op_sel_hi:[1,0,1] neg_lo:[0,0,1] neg_hi:[0,0,1]
	;; [unrolled: 1-line block ×4, first 2 shown]
	v_pk_add_f32 v[24:25], v[28:29], v[24:25] neg_lo:[0,1] neg_hi:[0,1]
	v_pk_add_f32 v[26:27], v[30:31], v[26:27] neg_lo:[0,1] neg_hi:[0,1]
	v_pk_fma_f32 v[28:29], v[28:29], 2.0, v[24:25] op_sel_hi:[1,0,1] neg_lo:[0,0,1] neg_hi:[0,0,1]
	v_pk_fma_f32 v[30:31], v[30:31], 2.0, v[26:27] op_sel_hi:[1,0,1] neg_lo:[0,0,1] neg_hi:[0,0,1]
	s_mov_b32 s0, 0x3f3504f3
	v_pk_add_f32 v[30:31], v[28:29], v[30:31] neg_lo:[0,1] neg_hi:[0,1]
	s_nop 0
	v_pk_fma_f32 v[28:29], v[28:29], 2.0, v[30:31] op_sel_hi:[1,0,1] neg_lo:[0,0,1] neg_hi:[0,0,1]
	ds_write_b64 v117, v[28:29]
	v_pk_add_f32 v[28:29], v[20:21], v[16:17] op_sel:[0,1] op_sel_hi:[1,0]
	v_pk_add_f32 v[16:17], v[20:21], v[16:17] op_sel:[0,1] op_sel_hi:[1,0] neg_lo:[0,1] neg_hi:[0,1]
	s_nop 0
	v_mov_b32_e32 v29, v17
	v_pk_fma_f32 v[16:17], v[20:21], 2.0, v[28:29] op_sel_hi:[1,0,1] neg_lo:[0,0,1] neg_hi:[0,0,1]
	v_pk_add_f32 v[20:21], v[22:23], v[18:19] op_sel:[0,1] op_sel_hi:[1,0]
	v_pk_add_f32 v[18:19], v[22:23], v[18:19] op_sel:[0,1] op_sel_hi:[1,0] neg_lo:[0,1] neg_hi:[0,1]
	s_nop 0
	v_mov_b32_e32 v21, v19
	v_pk_fma_f32 v[18:19], v[22:23], 2.0, v[20:21] op_sel_hi:[1,0,1] neg_lo:[0,0,1] neg_hi:[0,0,1]
	s_nop 0
	v_pk_mul_f32 v[22:23], v[18:19], s[0:1] op_sel_hi:[1,0]
	v_pk_fma_f32 v[18:19], v[18:19], s[0:1], v[16:17] op_sel_hi:[1,0,1] neg_lo:[1,0,0] neg_hi:[1,0,0]
	s_nop 0
	v_pk_add_f32 v[32:33], v[18:19], v[22:23] op_sel:[0,1] op_sel_hi:[1,0]
	v_pk_add_f32 v[18:19], v[18:19], v[22:23] op_sel:[0,1] op_sel_hi:[1,0] neg_lo:[0,1] neg_hi:[0,1]
	v_pk_add_f32 v[22:23], v[24:25], v[26:27] op_sel:[0,1] op_sel_hi:[1,0] neg_lo:[0,1] neg_hi:[0,1]
	v_mov_b32_e32 v33, v19
	v_pk_add_f32 v[18:19], v[24:25], v[26:27] op_sel:[0,1] op_sel_hi:[1,0]
	v_pk_fma_f32 v[16:17], v[16:17], 2.0, v[32:33] op_sel_hi:[1,0,1] neg_lo:[0,0,1] neg_hi:[0,0,1]
	v_mov_b32_e32 v19, v23
	v_pk_fma_f32 v[22:23], v[24:25], 2.0, v[18:19] op_sel_hi:[1,0,1] neg_lo:[0,0,1] neg_hi:[0,0,1]
	ds_write2_b64 v87, v[16:17], v[22:23] offset0:80 offset1:160
	v_pk_mul_f32 v[16:17], v[20:21], s[0:1] op_sel_hi:[1,0]
	v_pk_fma_f32 v[20:21], v[20:21], s[0:1], v[28:29] op_sel_hi:[1,0,1]
	s_nop 0
	v_pk_add_f32 v[22:23], v[20:21], v[16:17] op_sel:[0,1] op_sel_hi:[1,0]
	v_pk_add_f32 v[16:17], v[20:21], v[16:17] op_sel:[0,1] op_sel_hi:[1,0] neg_lo:[0,1] neg_hi:[0,1]
	s_nop 0
	v_mov_b32_e32 v23, v17
	v_pk_fma_f32 v[20:21], v[28:29], 2.0, v[22:23] op_sel_hi:[1,0,1] neg_lo:[0,0,1] neg_hi:[0,0,1]
	v_add_u32_e32 v17, 0x400, v87
	v_add_u32_e32 v16, 0x800, v87
	ds_write2_b64 v17, v[20:21], v[30:31] offset0:112 offset1:192
	ds_write2_b64 v16, v[32:33], v[18:19] offset0:144 offset1:224
	ds_write_b64 v87, v[22:23] offset:4480
	s_and_saveexec_b64 s[2:3], s[4:5]
	s_cbranch_execz .LBB0_21
; %bb.20:
	v_pk_mul_f32 v[20:21], v[6:7], v[44:45] op_sel:[0,1]
	v_pk_mul_f32 v[22:23], v[2:3], v[50:51] op_sel_hi:[1,0]
	v_pk_fma_f32 v[32:33], v[6:7], v[44:45], v[20:21] op_sel:[0,0,1] op_sel_hi:[1,1,0]
	v_pk_fma_f32 v[6:7], v[6:7], v[44:45], v[20:21] op_sel:[0,0,1] op_sel_hi:[1,0,0] neg_lo:[1,0,0] neg_hi:[1,0,0]
	v_pk_mul_f32 v[18:19], v[14:15], v[52:53] op_sel:[0,1]
	v_mov_b32_e32 v33, v7
	v_pk_fma_f32 v[6:7], v[2:3], v[66:67], v[22:23] op_sel:[0,1,1] op_sel_hi:[1,1,0]
	v_pk_fma_f32 v[2:3], v[2:3], v[66:67], v[22:23] op_sel:[0,1,1] op_sel_hi:[1,1,0] neg_lo:[1,0,0] neg_hi:[1,0,0]
	v_pk_mul_f32 v[28:29], v[12:13], v[46:47] op_sel:[0,1]
	v_mov_b32_e32 v7, v3
	v_pk_add_f32 v[2:3], v[32:33], v[6:7] neg_lo:[0,1] neg_hi:[0,1]
	v_pk_fma_f32 v[6:7], v[14:15], v[52:53], v[18:19] op_sel:[0,0,1] op_sel_hi:[1,1,0]
	v_pk_fma_f32 v[14:15], v[14:15], v[52:53], v[18:19] op_sel:[0,0,1] op_sel_hi:[1,0,0] neg_lo:[1,0,0] neg_hi:[1,0,0]
	v_pk_mul_f32 v[30:31], v[90:91], v[42:43] op_sel:[0,1]
	v_mov_b32_e32 v7, v15
	v_pk_fma_f32 v[14:15], v[12:13], v[46:47], v[28:29] op_sel:[0,0,1] op_sel_hi:[1,1,0]
	v_pk_fma_f32 v[12:13], v[12:13], v[46:47], v[28:29] op_sel:[0,0,1] op_sel_hi:[1,0,0] neg_lo:[1,0,0] neg_hi:[1,0,0]
	v_pk_mul_f32 v[24:25], v[4:5], v[10:11] op_sel:[0,1]
	v_mov_b32_e32 v15, v13
	v_pk_fma_f32 v[12:13], v[90:91], v[66:67], v[30:31] op_sel:[0,0,1] op_sel_hi:[1,1,0]
	v_pk_fma_f32 v[18:19], v[90:91], v[66:67], v[30:31] op_sel:[0,0,1] op_sel_hi:[1,0,0] neg_lo:[1,0,0] neg_hi:[1,0,0]
	v_pk_mul_f32 v[26:27], v[0:1], v[50:51] op_sel:[0,1]
	v_mov_b32_e32 v13, v19
	v_pk_fma_f32 v[18:19], v[4:5], v[10:11], v[24:25] op_sel:[0,0,1] op_sel_hi:[1,1,0]
	v_pk_fma_f32 v[4:5], v[4:5], v[10:11], v[24:25] op_sel:[0,0,1] op_sel_hi:[1,0,0] neg_lo:[1,0,0] neg_hi:[1,0,0]
	v_pk_add_f32 v[6:7], v[8:9], v[6:7] neg_lo:[0,1] neg_hi:[0,1]
	v_mov_b32_e32 v19, v5
	v_pk_fma_f32 v[4:5], v[0:1], v[42:43], v[26:27] op_sel:[0,0,1] op_sel_hi:[1,1,0]
	v_pk_fma_f32 v[0:1], v[0:1], v[42:43], v[26:27] op_sel:[0,0,1] op_sel_hi:[1,0,0] neg_lo:[1,0,0] neg_hi:[1,0,0]
	v_pk_add_f32 v[12:13], v[14:15], v[12:13] neg_lo:[0,1] neg_hi:[0,1]
	v_mov_b32_e32 v5, v1
	v_pk_add_f32 v[0:1], v[18:19], v[4:5] neg_lo:[0,1] neg_hi:[0,1]
	v_pk_fma_f32 v[4:5], v[8:9], 2.0, v[6:7] op_sel_hi:[1,0,1] neg_lo:[0,0,1] neg_hi:[0,0,1]
	v_pk_fma_f32 v[8:9], v[32:33], 2.0, v[2:3] op_sel_hi:[1,0,1] neg_lo:[0,0,1] neg_hi:[0,0,1]
	v_pk_fma_f32 v[10:11], v[18:19], 2.0, v[0:1] op_sel_hi:[1,0,1] neg_lo:[0,0,1] neg_hi:[0,0,1]
	v_pk_add_f32 v[18:19], v[6:7], v[2:3] op_sel:[0,1] op_sel_hi:[1,0]
	v_pk_add_f32 v[2:3], v[6:7], v[2:3] op_sel:[0,1] op_sel_hi:[1,0] neg_lo:[0,1] neg_hi:[0,1]
	v_pk_fma_f32 v[14:15], v[14:15], 2.0, v[12:13] op_sel_hi:[1,0,1] neg_lo:[0,0,1] neg_hi:[0,0,1]
	v_mov_b32_e32 v19, v3
	v_pk_add_f32 v[2:3], v[0:1], v[12:13] op_sel:[0,1] op_sel_hi:[1,0]
	v_pk_add_f32 v[12:13], v[0:1], v[12:13] op_sel:[0,1] op_sel_hi:[1,0] neg_lo:[0,1] neg_hi:[0,1]
	v_pk_fma_f32 v[6:7], v[6:7], 2.0, v[18:19] op_sel_hi:[1,0,1] neg_lo:[0,0,1] neg_hi:[0,0,1]
	v_mov_b32_e32 v3, v13
	v_pk_fma_f32 v[0:1], v[0:1], 2.0, v[2:3] op_sel_hi:[1,0,1] neg_lo:[0,0,1] neg_hi:[0,0,1]
	v_pk_add_f32 v[8:9], v[4:5], v[8:9] neg_lo:[0,1] neg_hi:[0,1]
	v_pk_add_f32 v[14:15], v[10:11], v[14:15] neg_lo:[0,1] neg_hi:[0,1]
	v_pk_mul_f32 v[12:13], v[0:1], s[0:1] op_sel_hi:[1,0]
	v_pk_fma_f32 v[0:1], v[0:1], s[0:1], v[6:7] op_sel_hi:[1,0,1] neg_lo:[1,0,0] neg_hi:[1,0,0]
	v_pk_fma_f32 v[4:5], v[4:5], 2.0, v[8:9] op_sel_hi:[1,0,1] neg_lo:[0,0,1] neg_hi:[0,0,1]
	v_pk_fma_f32 v[10:11], v[10:11], 2.0, v[14:15] op_sel_hi:[1,0,1] neg_lo:[0,0,1] neg_hi:[0,0,1]
	v_pk_add_f32 v[20:21], v[0:1], v[12:13] op_sel:[0,1] op_sel_hi:[1,0]
	v_pk_add_f32 v[0:1], v[0:1], v[12:13] op_sel:[0,1] op_sel_hi:[1,0] neg_lo:[0,1] neg_hi:[0,1]
	v_pk_add_f32 v[10:11], v[4:5], v[10:11] neg_lo:[0,1] neg_hi:[0,1]
	v_mov_b32_e32 v21, v1
	v_pk_fma_f32 v[4:5], v[4:5], 2.0, v[10:11] op_sel_hi:[1,0,1] neg_lo:[0,0,1] neg_hi:[0,0,1]
	v_pk_fma_f32 v[0:1], v[6:7], 2.0, v[20:21] op_sel_hi:[1,0,1] neg_lo:[0,0,1] neg_hi:[0,0,1]
	ds_write2_b64 v87, v[4:5], v[0:1] offset0:64 offset1:144
	v_pk_add_f32 v[0:1], v[8:9], v[14:15] op_sel:[0,1] op_sel_hi:[1,0]
	v_pk_add_f32 v[4:5], v[8:9], v[14:15] op_sel:[0,1] op_sel_hi:[1,0] neg_lo:[0,1] neg_hi:[0,1]
	v_pk_mul_f32 v[6:7], v[2:3], s[0:1] op_sel_hi:[1,0]
	v_mov_b32_e32 v1, v5
	v_pk_fma_f32 v[2:3], v[2:3], s[0:1], v[18:19] op_sel_hi:[1,0,1]
	v_pk_fma_f32 v[4:5], v[8:9], 2.0, v[0:1] op_sel_hi:[1,0,1] neg_lo:[0,0,1] neg_hi:[0,0,1]
	v_pk_add_f32 v[8:9], v[2:3], v[6:7] op_sel:[0,1] op_sel_hi:[1,0]
	v_pk_add_f32 v[2:3], v[2:3], v[6:7] op_sel:[0,1] op_sel_hi:[1,0] neg_lo:[0,1] neg_hi:[0,1]
	s_nop 0
	v_mov_b32_e32 v9, v3
	v_pk_fma_f32 v[2:3], v[18:19], 2.0, v[8:9] op_sel_hi:[1,0,1] neg_lo:[0,0,1] neg_hi:[0,0,1]
	ds_write2_b64 v17, v[4:5], v[2:3] offset0:96 offset1:176
	ds_write2_b64 v16, v[10:11], v[20:21] offset0:128 offset1:208
	v_add_u32_e32 v2, 0x1000, v87
	ds_write2_b64 v2, v[0:1], v[8:9] offset0:32 offset1:112
.LBB0_21:
	s_or_b64 exec, exec, s[2:3]
	s_waitcnt lgkmcnt(0)
	s_barrier
	ds_read_b64 v[2:3], v117
	ds_read_b64 v[8:9], v87 offset:4480
	v_mad_u64_u32 v[6:7], s[0:1], s10, v86, 0
	v_mov_b32_e32 v0, v7
	v_mad_u64_u32 v[0:1], s[0:1], s11, v86, v[0:1]
	v_mov_b32_e32 v7, v0
	s_waitcnt lgkmcnt(1)
	v_mul_f32_e32 v0, v79, v3
	v_fmac_f32_e32 v0, v78, v2
	s_mov_b32 s0, 0x9999999a
	v_cvt_f64_f32_e32 v[0:1], v0
	s_mov_b32 s1, 0x3f599999
	v_mul_f64 v[0:1], v[0:1], s[0:1]
	v_cvt_f32_f64_e32 v10, v[0:1]
	v_mul_f32_e32 v0, v79, v2
	v_fma_f32 v0, v78, v3, -v0
	v_cvt_f64_f32_e32 v[0:1], v0
	v_mul_f64 v[0:1], v[0:1], s[0:1]
	v_mad_u64_u32 v[12:13], s[2:3], s8, v116, 0
	v_cvt_f32_f64_e32 v11, v[0:1]
	v_mov_b32_e32 v0, v13
	v_mad_u64_u32 v[14:15], s[2:3], s9, v116, v[0:1]
	ds_read2_b64 v[0:3], v87 offset0:80 offset1:160
	v_mov_b32_e32 v4, s14
	v_mov_b32_e32 v5, s15
	v_lshl_add_u64 v[4:5], v[6:7], 3, v[4:5]
	s_mul_i32 s2, s9, 0x50
	s_waitcnt lgkmcnt(0)
	v_mul_f32_e32 v6, v81, v1
	v_fmac_f32_e32 v6, v80, v0
	v_mul_f32_e32 v0, v81, v0
	v_fma_f32 v0, v80, v1, -v0
	v_cvt_f64_f32_e32 v[6:7], v6
	v_cvt_f64_f32_e32 v[0:1], v0
	v_mul_f64 v[6:7], v[6:7], s[0:1]
	v_mul_f64 v[0:1], v[0:1], s[0:1]
	v_cvt_f32_f64_e32 v6, v[6:7]
	v_cvt_f32_f64_e32 v7, v[0:1]
	s_mul_hi_u32 s3, s8, 0x50
	v_mul_f32_e32 v0, v73, v3
	v_mov_b32_e32 v13, v14
	s_add_i32 s3, s3, s2
	s_mul_i32 s2, s8, 0x50
	v_fmac_f32_e32 v0, v72, v2
	v_lshl_add_u64 v[4:5], v[12:13], 3, v[4:5]
	s_lshl_b64 s[2:3], s[2:3], 3
	v_cvt_f64_f32_e32 v[0:1], v0
	global_store_dwordx2 v[4:5], v[10:11], off
	v_lshl_add_u64 v[4:5], v[4:5], 0, s[2:3]
	v_mul_f64 v[0:1], v[0:1], s[0:1]
	global_store_dwordx2 v[4:5], v[6:7], off
	v_cvt_f32_f64_e32 v6, v[0:1]
	v_mul_f32_e32 v0, v73, v2
	v_fma_f32 v0, v72, v3, -v0
	v_cvt_f64_f32_e32 v[10:11], v0
	ds_read2_b64 v[0:3], v17 offset0:112 offset1:192
	v_mul_f64 v[10:11], v[10:11], s[0:1]
	v_cvt_f32_f64_e32 v7, v[10:11]
	v_lshl_add_u64 v[4:5], v[4:5], 0, s[2:3]
	global_store_dwordx2 v[4:5], v[6:7], off
	s_waitcnt lgkmcnt(0)
	v_mul_f32_e32 v6, v75, v1
	v_fmac_f32_e32 v6, v74, v0
	v_mul_f32_e32 v0, v75, v0
	v_fma_f32 v0, v74, v1, -v0
	v_cvt_f64_f32_e32 v[6:7], v6
	v_cvt_f64_f32_e32 v[0:1], v0
	v_mul_f64 v[6:7], v[6:7], s[0:1]
	v_mul_f64 v[0:1], v[0:1], s[0:1]
	v_cvt_f32_f64_e32 v6, v[6:7]
	v_cvt_f32_f64_e32 v7, v[0:1]
	v_mul_f32_e32 v0, v85, v3
	v_fmac_f32_e32 v0, v84, v2
	v_cvt_f64_f32_e32 v[0:1], v0
	v_lshl_add_u64 v[4:5], v[4:5], 0, s[2:3]
	v_mul_f64 v[0:1], v[0:1], s[0:1]
	global_store_dwordx2 v[4:5], v[6:7], off
	v_cvt_f32_f64_e32 v6, v[0:1]
	v_mul_f32_e32 v0, v85, v2
	v_fma_f32 v0, v84, v3, -v0
	v_cvt_f64_f32_e32 v[10:11], v0
	ds_read2_b64 v[0:3], v16 offset0:144 offset1:224
	v_mul_f64 v[10:11], v[10:11], s[0:1]
	v_cvt_f32_f64_e32 v7, v[10:11]
	v_lshl_add_u64 v[4:5], v[4:5], 0, s[2:3]
	global_store_dwordx2 v[4:5], v[6:7], off
	s_waitcnt lgkmcnt(0)
	v_mul_f32_e32 v6, v83, v1
	v_fmac_f32_e32 v6, v82, v0
	v_mul_f32_e32 v0, v83, v0
	v_fma_f32 v0, v82, v1, -v0
	v_cvt_f64_f32_e32 v[6:7], v6
	v_cvt_f64_f32_e32 v[0:1], v0
	v_mul_f64 v[6:7], v[6:7], s[0:1]
	v_mul_f64 v[0:1], v[0:1], s[0:1]
	v_cvt_f32_f64_e32 v6, v[6:7]
	v_cvt_f32_f64_e32 v7, v[0:1]
	v_lshl_add_u64 v[0:1], v[4:5], 0, s[2:3]
	v_mul_f32_e32 v4, v71, v3
	v_fmac_f32_e32 v4, v70, v2
	v_mul_f32_e32 v2, v71, v2
	v_fma_f32 v2, v70, v3, -v2
	v_cvt_f64_f32_e32 v[4:5], v4
	v_cvt_f64_f32_e32 v[2:3], v2
	v_mul_f64 v[4:5], v[4:5], s[0:1]
	v_mul_f64 v[2:3], v[2:3], s[0:1]
	v_cvt_f32_f64_e32 v4, v[4:5]
	v_cvt_f32_f64_e32 v5, v[2:3]
	v_mul_f32_e32 v2, v77, v9
	v_fmac_f32_e32 v2, v76, v8
	v_cvt_f64_f32_e32 v[2:3], v2
	v_mul_f64 v[2:3], v[2:3], s[0:1]
	v_cvt_f32_f64_e32 v2, v[2:3]
	v_mul_f32_e32 v3, v77, v8
	global_store_dwordx2 v[0:1], v[6:7], off
	v_lshl_add_u64 v[0:1], v[0:1], 0, s[2:3]
	v_fma_f32 v3, v76, v9, -v3
	global_store_dwordx2 v[0:1], v[4:5], off
	v_cvt_f64_f32_e32 v[4:5], v3
	v_mul_f64 v[4:5], v[4:5], s[0:1]
	v_cvt_f32_f64_e32 v3, v[4:5]
	v_lshl_add_u64 v[0:1], v[0:1], 0, s[2:3]
	global_store_dwordx2 v[0:1], v[2:3], off
	s_and_b64 exec, exec, s[4:5]
	s_cbranch_execz .LBB0_23
; %bb.22:
	global_load_dwordx2 v[10:11], v[68:69], off offset:512
	global_load_dwordx2 v[12:13], v[68:69], off offset:1152
	;; [unrolled: 1-line block ×4, first 2 shown]
	ds_read2_b64 v[2:5], v87 offset0:64 offset1:144
	v_mov_b32_e32 v6, 0xfffff080
	v_add_u32_e32 v7, 0x400, v87
	v_mad_u64_u32 v[0:1], s[4:5], s8, v6, v[0:1]
	ds_read2_b64 v[6:9], v7 offset0:96 offset1:176
	s_mul_i32 s6, s9, 0xfffff080
	s_sub_i32 s4, s6, s8
	v_add_u32_e32 v1, s4, v1
	v_lshl_add_u64 v[18:19], v[0:1], 0, s[2:3]
	v_lshl_add_u64 v[20:21], v[18:19], 0, s[2:3]
	;; [unrolled: 1-line block ×3, first 2 shown]
	s_movk_i32 s4, 0x1000
	s_waitcnt vmcnt(3) lgkmcnt(1)
	v_mul_f32_e32 v24, v3, v11
	v_mul_f32_e32 v11, v2, v11
	s_waitcnt vmcnt(2)
	v_mul_f32_e32 v25, v5, v13
	v_mul_f32_e32 v13, v4, v13
	s_waitcnt vmcnt(1) lgkmcnt(0)
	v_mul_f32_e32 v26, v7, v15
	v_mul_f32_e32 v15, v6, v15
	s_waitcnt vmcnt(0)
	v_mul_f32_e32 v27, v9, v17
	v_mul_f32_e32 v17, v8, v17
	v_fmac_f32_e32 v24, v2, v10
	v_fma_f32 v10, v10, v3, -v11
	v_fmac_f32_e32 v25, v4, v12
	v_fma_f32 v11, v12, v5, -v13
	;; [unrolled: 2-line block ×4, first 2 shown]
	v_cvt_f64_f32_e32 v[2:3], v24
	v_cvt_f64_f32_e32 v[4:5], v10
	;; [unrolled: 1-line block ×8, first 2 shown]
	v_mul_f64 v[2:3], v[2:3], s[0:1]
	v_mul_f64 v[4:5], v[4:5], s[0:1]
	v_mul_f64 v[6:7], v[6:7], s[0:1]
	v_mul_f64 v[8:9], v[8:9], s[0:1]
	v_mul_f64 v[10:11], v[10:11], s[0:1]
	v_mul_f64 v[12:13], v[12:13], s[0:1]
	v_mul_f64 v[14:15], v[14:15], s[0:1]
	v_mul_f64 v[16:17], v[16:17], s[0:1]
	v_cvt_f32_f64_e32 v2, v[2:3]
	v_cvt_f32_f64_e32 v3, v[4:5]
	v_cvt_f32_f64_e32 v4, v[6:7]
	v_cvt_f32_f64_e32 v5, v[8:9]
	v_cvt_f32_f64_e32 v6, v[10:11]
	v_cvt_f32_f64_e32 v7, v[12:13]
	v_cvt_f32_f64_e32 v8, v[14:15]
	v_cvt_f32_f64_e32 v9, v[16:17]
	global_store_dwordx2 v[0:1], v[2:3], off
	global_store_dwordx2 v[18:19], v[4:5], off
	;; [unrolled: 1-line block ×4, first 2 shown]
	global_load_dwordx2 v[4:5], v[68:69], off offset:3072
	v_add_u32_e32 v0, 0x800, v87
	ds_read2_b64 v[0:3], v0 offset0:128 offset1:208
	v_lshl_add_u64 v[6:7], v[22:23], 0, s[2:3]
	s_waitcnt vmcnt(0) lgkmcnt(0)
	v_mul_f32_e32 v8, v1, v5
	v_mul_f32_e32 v5, v0, v5
	v_fmac_f32_e32 v8, v0, v4
	v_fma_f32 v4, v4, v1, -v5
	v_cvt_f64_f32_e32 v[0:1], v8
	v_cvt_f64_f32_e32 v[4:5], v4
	v_mul_f64 v[0:1], v[0:1], s[0:1]
	v_mul_f64 v[4:5], v[4:5], s[0:1]
	v_cvt_f32_f64_e32 v0, v[0:1]
	v_cvt_f32_f64_e32 v1, v[4:5]
	global_store_dwordx2 v[6:7], v[0:1], off
	global_load_dwordx2 v[0:1], v[68:69], off offset:3712
	v_add_co_u32_e32 v4, vcc, s4, v68
	v_lshl_add_u64 v[6:7], v[6:7], 0, s[2:3]
	s_nop 0
	v_addc_co_u32_e32 v5, vcc, 0, v69, vcc
	s_waitcnt vmcnt(0)
	v_mul_f32_e32 v8, v3, v1
	v_mul_f32_e32 v1, v2, v1
	v_fmac_f32_e32 v8, v2, v0
	v_fma_f32 v2, v0, v3, -v1
	v_cvt_f64_f32_e32 v[0:1], v8
	v_cvt_f64_f32_e32 v[2:3], v2
	v_mul_f64 v[0:1], v[0:1], s[0:1]
	v_mul_f64 v[2:3], v[2:3], s[0:1]
	v_cvt_f32_f64_e32 v0, v[0:1]
	v_cvt_f32_f64_e32 v1, v[2:3]
	global_store_dwordx2 v[6:7], v[0:1], off
	global_load_dwordx2 v[8:9], v[4:5], off offset:256
	v_add_u32_e32 v0, 0x1000, v87
	ds_read2_b64 v[0:3], v0 offset0:32 offset1:112
	v_lshl_add_u64 v[6:7], v[6:7], 0, s[2:3]
	s_waitcnt vmcnt(0) lgkmcnt(0)
	v_mul_f32_e32 v10, v1, v9
	v_mul_f32_e32 v9, v0, v9
	v_fmac_f32_e32 v10, v0, v8
	v_fma_f32 v8, v8, v1, -v9
	v_cvt_f64_f32_e32 v[0:1], v10
	v_cvt_f64_f32_e32 v[8:9], v8
	v_mul_f64 v[0:1], v[0:1], s[0:1]
	v_mul_f64 v[8:9], v[8:9], s[0:1]
	v_cvt_f32_f64_e32 v0, v[0:1]
	v_cvt_f32_f64_e32 v1, v[8:9]
	global_store_dwordx2 v[6:7], v[0:1], off
	global_load_dwordx2 v[0:1], v[4:5], off offset:896
	s_waitcnt vmcnt(0)
	v_mul_f32_e32 v4, v3, v1
	v_mul_f32_e32 v1, v2, v1
	v_fmac_f32_e32 v4, v2, v0
	v_fma_f32 v2, v0, v3, -v1
	v_cvt_f64_f32_e32 v[0:1], v4
	v_cvt_f64_f32_e32 v[2:3], v2
	v_mul_f64 v[0:1], v[0:1], s[0:1]
	v_mul_f64 v[2:3], v[2:3], s[0:1]
	v_cvt_f32_f64_e32 v0, v[0:1]
	v_cvt_f32_f64_e32 v1, v[2:3]
	v_lshl_add_u64 v[2:3], v[6:7], 0, s[2:3]
	global_store_dwordx2 v[2:3], v[0:1], off
.LBB0_23:
	s_endpgm
	.section	.rodata,"a",@progbits
	.p2align	6, 0x0
	.amdhsa_kernel bluestein_single_back_len640_dim1_sp_op_CI_CI
		.amdhsa_group_segment_fixed_size 10240
		.amdhsa_private_segment_fixed_size 0
		.amdhsa_kernarg_size 104
		.amdhsa_user_sgpr_count 2
		.amdhsa_user_sgpr_dispatch_ptr 0
		.amdhsa_user_sgpr_queue_ptr 0
		.amdhsa_user_sgpr_kernarg_segment_ptr 1
		.amdhsa_user_sgpr_dispatch_id 0
		.amdhsa_user_sgpr_kernarg_preload_length 0
		.amdhsa_user_sgpr_kernarg_preload_offset 0
		.amdhsa_user_sgpr_private_segment_size 0
		.amdhsa_uses_dynamic_stack 0
		.amdhsa_enable_private_segment 0
		.amdhsa_system_sgpr_workgroup_id_x 1
		.amdhsa_system_sgpr_workgroup_id_y 0
		.amdhsa_system_sgpr_workgroup_id_z 0
		.amdhsa_system_sgpr_workgroup_info 0
		.amdhsa_system_vgpr_workitem_id 0
		.amdhsa_next_free_vgpr 136
		.amdhsa_next_free_sgpr 22
		.amdhsa_accum_offset 136
		.amdhsa_reserve_vcc 1
		.amdhsa_float_round_mode_32 0
		.amdhsa_float_round_mode_16_64 0
		.amdhsa_float_denorm_mode_32 3
		.amdhsa_float_denorm_mode_16_64 3
		.amdhsa_dx10_clamp 1
		.amdhsa_ieee_mode 1
		.amdhsa_fp16_overflow 0
		.amdhsa_tg_split 0
		.amdhsa_exception_fp_ieee_invalid_op 0
		.amdhsa_exception_fp_denorm_src 0
		.amdhsa_exception_fp_ieee_div_zero 0
		.amdhsa_exception_fp_ieee_overflow 0
		.amdhsa_exception_fp_ieee_underflow 0
		.amdhsa_exception_fp_ieee_inexact 0
		.amdhsa_exception_int_div_zero 0
	.end_amdhsa_kernel
	.text
.Lfunc_end0:
	.size	bluestein_single_back_len640_dim1_sp_op_CI_CI, .Lfunc_end0-bluestein_single_back_len640_dim1_sp_op_CI_CI
                                        ; -- End function
	.section	.AMDGPU.csdata,"",@progbits
; Kernel info:
; codeLenInByte = 10736
; NumSgprs: 28
; NumVgprs: 136
; NumAgprs: 0
; TotalNumVgprs: 136
; ScratchSize: 0
; MemoryBound: 0
; FloatMode: 240
; IeeeMode: 1
; LDSByteSize: 10240 bytes/workgroup (compile time only)
; SGPRBlocks: 3
; VGPRBlocks: 16
; NumSGPRsForWavesPerEU: 28
; NumVGPRsForWavesPerEU: 136
; AccumOffset: 136
; Occupancy: 3
; WaveLimiterHint : 1
; COMPUTE_PGM_RSRC2:SCRATCH_EN: 0
; COMPUTE_PGM_RSRC2:USER_SGPR: 2
; COMPUTE_PGM_RSRC2:TRAP_HANDLER: 0
; COMPUTE_PGM_RSRC2:TGID_X_EN: 1
; COMPUTE_PGM_RSRC2:TGID_Y_EN: 0
; COMPUTE_PGM_RSRC2:TGID_Z_EN: 0
; COMPUTE_PGM_RSRC2:TIDIG_COMP_CNT: 0
; COMPUTE_PGM_RSRC3_GFX90A:ACCUM_OFFSET: 33
; COMPUTE_PGM_RSRC3_GFX90A:TG_SPLIT: 0
	.text
	.p2alignl 6, 3212836864
	.fill 256, 4, 3212836864
	.type	__hip_cuid_e5f84992ad20b203,@object ; @__hip_cuid_e5f84992ad20b203
	.section	.bss,"aw",@nobits
	.globl	__hip_cuid_e5f84992ad20b203
__hip_cuid_e5f84992ad20b203:
	.byte	0                               ; 0x0
	.size	__hip_cuid_e5f84992ad20b203, 1

	.ident	"AMD clang version 19.0.0git (https://github.com/RadeonOpenCompute/llvm-project roc-6.4.0 25133 c7fe45cf4b819c5991fe208aaa96edf142730f1d)"
	.section	".note.GNU-stack","",@progbits
	.addrsig
	.addrsig_sym __hip_cuid_e5f84992ad20b203
	.amdgpu_metadata
---
amdhsa.kernels:
  - .agpr_count:     0
    .args:
      - .actual_access:  read_only
        .address_space:  global
        .offset:         0
        .size:           8
        .value_kind:     global_buffer
      - .actual_access:  read_only
        .address_space:  global
        .offset:         8
        .size:           8
        .value_kind:     global_buffer
      - .actual_access:  read_only
        .address_space:  global
        .offset:         16
        .size:           8
        .value_kind:     global_buffer
      - .actual_access:  read_only
        .address_space:  global
        .offset:         24
        .size:           8
        .value_kind:     global_buffer
      - .actual_access:  read_only
        .address_space:  global
        .offset:         32
        .size:           8
        .value_kind:     global_buffer
      - .offset:         40
        .size:           8
        .value_kind:     by_value
      - .address_space:  global
        .offset:         48
        .size:           8
        .value_kind:     global_buffer
      - .address_space:  global
        .offset:         56
        .size:           8
        .value_kind:     global_buffer
      - .address_space:  global
        .offset:         64
        .size:           8
        .value_kind:     global_buffer
      - .address_space:  global
        .offset:         72
        .size:           8
        .value_kind:     global_buffer
      - .offset:         80
        .size:           4
        .value_kind:     by_value
      - .address_space:  global
        .offset:         88
        .size:           8
        .value_kind:     global_buffer
      - .address_space:  global
        .offset:         96
        .size:           8
        .value_kind:     global_buffer
    .group_segment_fixed_size: 10240
    .kernarg_segment_align: 8
    .kernarg_segment_size: 104
    .language:       OpenCL C
    .language_version:
      - 2
      - 0
    .max_flat_workgroup_size: 128
    .name:           bluestein_single_back_len640_dim1_sp_op_CI_CI
    .private_segment_fixed_size: 0
    .sgpr_count:     28
    .sgpr_spill_count: 0
    .symbol:         bluestein_single_back_len640_dim1_sp_op_CI_CI.kd
    .uniform_work_group_size: 1
    .uses_dynamic_stack: false
    .vgpr_count:     136
    .vgpr_spill_count: 0
    .wavefront_size: 64
amdhsa.target:   amdgcn-amd-amdhsa--gfx950
amdhsa.version:
  - 1
  - 2
...

	.end_amdgpu_metadata
